;; amdgpu-corpus repo=ROCm/rocFFT kind=compiled arch=gfx906 opt=O3
	.text
	.amdgcn_target "amdgcn-amd-amdhsa--gfx906"
	.amdhsa_code_object_version 6
	.protected	bluestein_single_fwd_len1020_dim1_half_op_CI_CI ; -- Begin function bluestein_single_fwd_len1020_dim1_half_op_CI_CI
	.globl	bluestein_single_fwd_len1020_dim1_half_op_CI_CI
	.p2align	8
	.type	bluestein_single_fwd_len1020_dim1_half_op_CI_CI,@function
bluestein_single_fwd_len1020_dim1_half_op_CI_CI: ; @bluestein_single_fwd_len1020_dim1_half_op_CI_CI
; %bb.0:
	v_mul_u32_u24_e32 v1, 0x3c4, v0
	s_mov_b64 s[42:43], s[2:3]
	s_load_dwordx4 s[8:11], s[4:5], 0x28
	v_lshrrev_b32_e32 v1, 16, v1
	s_mov_b64 s[40:41], s[0:1]
	v_mad_u64_u32 v[30:31], s[0:1], s6, 3, v[1:2]
	v_mov_b32_e32 v31, 0
	s_add_u32 s40, s40, s7
	s_waitcnt lgkmcnt(0)
	v_cmp_gt_u64_e32 vcc, s[8:9], v[30:31]
	s_addc_u32 s41, s41, 0
	s_and_saveexec_b64 s[0:1], vcc
	s_cbranch_execz .LBB0_31
; %bb.1:
	s_load_dwordx4 s[12:15], s[4:5], 0x18
	v_mul_lo_u16_e32 v1, 0x44, v1
	v_sub_u16_e32 v76, v0, v1
	v_lshlrev_b32_e32 v39, 2, v76
	s_waitcnt lgkmcnt(0)
	s_load_dwordx4 s[0:3], s[12:13], 0x0
	s_nop 0
	s_load_dwordx2 s[12:13], s[4:5], 0x0
	s_waitcnt lgkmcnt(0)
	v_mad_u64_u32 v[0:1], s[6:7], s2, v30, 0
	v_mad_u64_u32 v[2:3], s[6:7], s0, v76, 0
	global_load_dword v78, v39, s[12:13]
	v_mad_u64_u32 v[4:5], s[2:3], s3, v30, v[1:2]
	v_mad_u64_u32 v[5:6], s[2:3], s1, v76, v[3:4]
	v_mov_b32_e32 v1, v4
	v_lshlrev_b64 v[0:1], 2, v[0:1]
	v_mov_b32_e32 v6, s11
	v_mov_b32_e32 v3, v5
	v_add_co_u32_e32 v4, vcc, s10, v0
	v_addc_co_u32_e32 v5, vcc, v6, v1, vcc
	v_lshlrev_b64 v[0:1], 2, v[2:3]
	s_mov_b32 s2, 0xaaaaaaab
	v_add_co_u32_e32 v0, vcc, v4, v0
	v_addc_co_u32_e32 v1, vcc, v5, v1, vcc
	global_load_dword v2, v[0:1], off
	s_load_dwordx2 s[6:7], s[4:5], 0x38
	s_load_dwordx4 s[8:11], s[14:15], 0x0
	s_mul_i32 s3, s1, 0x1fe
	s_mul_hi_u32 s14, s0, 0x1fe
	v_mul_hi_u32 v3, v30, s2
	s_mul_i32 s2, s0, 0x1fe
	s_add_i32 s3, s14, s3
	s_lshl_b64 s[2:3], s[2:3], 2
	v_mov_b32_e32 v4, s3
	v_add_co_u32_e32 v0, vcc, s2, v0
	s_mul_hi_u32 s15, s0, 0xfffffe46
	v_addc_co_u32_e32 v1, vcc, v1, v4, vcc
	s_mulk_i32 s1, 0xfe46
	s_mul_i32 s14, s0, 0xfffffe46
	s_sub_i32 s0, s15, s0
	global_load_dword v5, v[0:1], off
	global_load_dword v77, v39, s[12:13] offset:2040
	s_add_i32 s15, s0, s1
	s_lshl_b64 s[14:15], s[14:15], 2
	v_mov_b32_e32 v7, s15
	v_add_co_u32_e32 v0, vcc, s14, v0
	v_addc_co_u32_e32 v1, vcc, v1, v7, vcc
	global_load_dword v74, v39, s[12:13] offset:2312
	global_load_dword v72, v39, s[12:13] offset:2584
	;; [unrolled: 1-line block ×9, first 2 shown]
	global_load_dword v8, v[0:1], off
	v_add_co_u32_e32 v0, vcc, s2, v0
	v_addc_co_u32_e32 v1, vcc, v1, v4, vcc
	global_load_dword v9, v[0:1], off
	v_add_co_u32_e32 v0, vcc, s14, v0
	v_addc_co_u32_e32 v1, vcc, v1, v7, vcc
	v_mov_b32_e32 v6, s13
	v_add_co_u32_e32 v183, vcc, s12, v39
	global_load_dword v10, v[0:1], off
	v_addc_co_u32_e32 v184, vcc, 0, v6, vcc
	v_add_co_u32_e32 v0, vcc, s2, v0
	v_addc_co_u32_e32 v1, vcc, v1, v4, vcc
	global_load_dword v6, v[0:1], off
	v_lshrrev_b32_e32 v3, 1, v3
	v_lshl_add_u32 v3, v3, 1, v3
	v_sub_u32_e32 v3, v30, v3
	v_add_co_u32_e32 v0, vcc, s14, v0
	v_mul_u32_u24_e32 v3, 0x3fc, v3
	v_addc_co_u32_e32 v1, vcc, v1, v7, vcc
	v_lshlrev_b32_e32 v79, 2, v3
	global_load_dword v3, v[0:1], off
	v_add_co_u32_e32 v0, vcc, s2, v0
	v_addc_co_u32_e32 v1, vcc, v1, v4, vcc
	global_load_dword v11, v[0:1], off
	v_add_co_u32_e32 v0, vcc, s14, v0
	v_addc_co_u32_e32 v1, vcc, v1, v7, vcc
	;; [unrolled: 3-line block ×3, first 2 shown]
	global_load_dword v15, v[0:1], off
	global_load_dword v68, v39, s[12:13] offset:3128
	v_add_co_u32_e32 v0, vcc, s14, v0
	v_addc_co_u32_e32 v1, vcc, v1, v7, vcc
	v_add_u32_e32 v63, v39, v79
	v_cmp_gt_u16_e64 s[0:1], 34, v76
	s_waitcnt vmcnt(20)
	v_lshrrev_b32_e32 v12, 16, v2
	v_mul_f16_sdwa v13, v78, v12 dst_sel:DWORD dst_unused:UNUSED_PAD src0_sel:WORD_1 src1_sel:DWORD
	v_fma_f16 v13, v78, v2, v13
	v_mul_f16_sdwa v2, v78, v2 dst_sel:DWORD dst_unused:UNUSED_PAD src0_sel:WORD_1 src1_sel:DWORD
	v_fma_f16 v2, v78, v12, -v2
	global_load_dword v12, v[0:1], off
	v_add_co_u32_e32 v0, vcc, s2, v0
	v_addc_co_u32_e32 v1, vcc, v1, v4, vcc
	global_load_dword v17, v[0:1], off
	global_load_dword v66, v39, s[12:13] offset:3400
	v_add_co_u32_e32 v0, vcc, s14, v0
	v_addc_co_u32_e32 v1, vcc, v1, v7, vcc
	global_load_dword v7, v[0:1], off
	v_add_co_u32_e32 v0, vcc, s2, v0
	v_addc_co_u32_e32 v1, vcc, v1, v4, vcc
	global_load_dword v4, v[0:1], off
	global_load_dword v193, v39, s[12:13] offset:3672
	v_pack_b32_f16 v2, v13, v2
	s_waitcnt vmcnt(25)
	v_lshrrev_b32_e32 v13, 16, v5
	s_waitcnt vmcnt(24)
	v_mul_f16_sdwa v16, v77, v13 dst_sel:DWORD dst_unused:UNUSED_PAD src0_sel:WORD_1 src1_sel:DWORD
	v_fma_f16 v16, v77, v5, v16
	v_mul_f16_sdwa v5, v77, v5 dst_sel:DWORD dst_unused:UNUSED_PAD src0_sel:WORD_1 src1_sel:DWORD
	v_fma_f16 v5, v77, v13, -v5
	v_pack_b32_f16 v5, v16, v5
	ds_write_b32 v63, v5 offset:2040
	s_waitcnt vmcnt(14)
	v_lshrrev_b32_e32 v5, 16, v8
	v_mul_f16_sdwa v13, v75, v5 dst_sel:DWORD dst_unused:UNUSED_PAD src0_sel:WORD_1 src1_sel:DWORD
	v_fma_f16 v13, v75, v8, v13
	v_mul_f16_sdwa v8, v75, v8 dst_sel:DWORD dst_unused:UNUSED_PAD src0_sel:WORD_1 src1_sel:DWORD
	v_fma_f16 v5, v75, v5, -v8
	v_pack_b32_f16 v5, v13, v5
	ds_write2_b32 v63, v2, v5 offset1:68
	s_waitcnt vmcnt(13)
	v_lshrrev_b32_e32 v2, 16, v9
	v_mul_f16_sdwa v5, v74, v2 dst_sel:DWORD dst_unused:UNUSED_PAD src0_sel:WORD_1 src1_sel:DWORD
	v_mul_f16_sdwa v8, v74, v9 dst_sel:DWORD dst_unused:UNUSED_PAD src0_sel:WORD_1 src1_sel:DWORD
	v_fma_f16 v5, v74, v9, v5
	v_fma_f16 v2, v74, v2, -v8
	v_pack_b32_f16 v5, v5, v2
	s_waitcnt vmcnt(12)
	v_lshrrev_b32_e32 v2, 16, v10
	v_mul_f16_sdwa v8, v73, v2 dst_sel:DWORD dst_unused:UNUSED_PAD src0_sel:WORD_1 src1_sel:DWORD
	v_mul_f16_sdwa v9, v73, v10 dst_sel:DWORD dst_unused:UNUSED_PAD src0_sel:WORD_1 src1_sel:DWORD
	v_fma_f16 v8, v73, v10, v8
	v_fma_f16 v2, v73, v2, -v9
	v_pack_b32_f16 v8, v8, v2
	s_waitcnt vmcnt(11)
	v_lshrrev_b32_e32 v2, 16, v6
	v_mul_f16_sdwa v9, v72, v2 dst_sel:DWORD dst_unused:UNUSED_PAD src0_sel:WORD_1 src1_sel:DWORD
	v_fma_f16 v9, v72, v6, v9
	v_mul_f16_sdwa v6, v72, v6 dst_sel:DWORD dst_unused:UNUSED_PAD src0_sel:WORD_1 src1_sel:DWORD
	v_fma_f16 v2, v72, v2, -v6
	v_pack_b32_f16 v6, v9, v2
	v_add_u32_e32 v2, 0x800, v63
	ds_write2_b32 v2, v5, v6 offset0:66 offset1:134
	s_waitcnt vmcnt(10)
	v_lshrrev_b32_e32 v5, 16, v3
	v_mul_f16_sdwa v6, v71, v5 dst_sel:DWORD dst_unused:UNUSED_PAD src0_sel:WORD_1 src1_sel:DWORD
	v_fma_f16 v6, v71, v3, v6
	v_mul_f16_sdwa v3, v71, v3 dst_sel:DWORD dst_unused:UNUSED_PAD src0_sel:WORD_1 src1_sel:DWORD
	v_fma_f16 v3, v71, v5, -v3
	v_pack_b32_f16 v3, v6, v3
	ds_write2_b32 v63, v8, v3 offset0:136 offset1:204
	s_waitcnt vmcnt(9)
	v_lshrrev_b32_e32 v3, 16, v11
	v_mul_f16_sdwa v5, v70, v3 dst_sel:DWORD dst_unused:UNUSED_PAD src0_sel:WORD_1 src1_sel:DWORD
	v_mul_f16_sdwa v6, v70, v11 dst_sel:DWORD dst_unused:UNUSED_PAD src0_sel:WORD_1 src1_sel:DWORD
	v_fma_f16 v5, v70, v11, v5
	v_fma_f16 v3, v70, v3, -v6
	v_pack_b32_f16 v5, v5, v3
	s_waitcnt vmcnt(8)
	v_lshrrev_b32_e32 v3, 16, v14
	v_mul_f16_sdwa v6, v69, v3 dst_sel:DWORD dst_unused:UNUSED_PAD src0_sel:WORD_1 src1_sel:DWORD
	v_mul_f16_sdwa v8, v69, v14 dst_sel:DWORD dst_unused:UNUSED_PAD src0_sel:WORD_1 src1_sel:DWORD
	v_fma_f16 v6, v69, v14, v6
	v_fma_f16 v3, v69, v3, -v8
	v_pack_b32_f16 v6, v6, v3
	s_waitcnt vmcnt(7)
	v_lshrrev_b32_e32 v3, 16, v15
	s_waitcnt vmcnt(6)
	v_mul_f16_sdwa v8, v68, v3 dst_sel:DWORD dst_unused:UNUSED_PAD src0_sel:WORD_1 src1_sel:DWORD
	v_mul_f16_sdwa v9, v68, v15 dst_sel:DWORD dst_unused:UNUSED_PAD src0_sel:WORD_1 src1_sel:DWORD
	v_fma_f16 v8, v68, v15, v8
	v_fma_f16 v3, v68, v3, -v9
	v_pack_b32_f16 v8, v8, v3
	v_add_u32_e32 v3, 0xa00, v63
	ds_write2_b32 v3, v5, v8 offset0:74 offset1:142
	v_add_u32_e32 v13, 0xc00, v63
	s_waitcnt vmcnt(5)
	v_lshrrev_b32_e32 v5, 16, v12
	v_mul_f16_sdwa v8, v67, v5 dst_sel:DWORD dst_unused:UNUSED_PAD src0_sel:WORD_1 src1_sel:DWORD
	v_mul_f16_sdwa v9, v67, v12 dst_sel:DWORD dst_unused:UNUSED_PAD src0_sel:WORD_1 src1_sel:DWORD
	v_fma_f16 v8, v67, v12, v8
	v_fma_f16 v5, v67, v5, -v9
	v_pack_b32_f16 v5, v8, v5
	v_add_u32_e32 v12, 0x400, v63
	ds_write2_b32 v12, v6, v5 offset0:16 offset1:84
	s_waitcnt vmcnt(4)
	v_lshrrev_b32_e32 v5, 16, v17
	s_waitcnt vmcnt(3)
	v_mul_f16_sdwa v6, v66, v5 dst_sel:DWORD dst_unused:UNUSED_PAD src0_sel:WORD_1 src1_sel:DWORD
	v_mul_f16_sdwa v8, v66, v17 dst_sel:DWORD dst_unused:UNUSED_PAD src0_sel:WORD_1 src1_sel:DWORD
	v_fma_f16 v6, v66, v17, v6
	v_fma_f16 v5, v66, v5, -v8
	v_pack_b32_f16 v5, v6, v5
	s_waitcnt vmcnt(2)
	v_lshrrev_b32_e32 v6, 16, v7
	v_mul_f16_sdwa v8, v65, v6 dst_sel:DWORD dst_unused:UNUSED_PAD src0_sel:WORD_1 src1_sel:DWORD
	v_fma_f16 v8, v65, v7, v8
	v_mul_f16_sdwa v7, v65, v7 dst_sel:DWORD dst_unused:UNUSED_PAD src0_sel:WORD_1 src1_sel:DWORD
	v_fma_f16 v6, v65, v6, -v7
	v_pack_b32_f16 v6, v8, v6
	ds_write_b32 v63, v6 offset:1632
	s_waitcnt vmcnt(1)
	v_lshrrev_b32_e32 v6, 16, v4
	s_waitcnt vmcnt(0)
	v_mul_f16_sdwa v7, v193, v6 dst_sel:DWORD dst_unused:UNUSED_PAD src0_sel:WORD_1 src1_sel:DWORD
	v_fma_f16 v7, v193, v4, v7
	v_mul_f16_sdwa v4, v193, v4 dst_sel:DWORD dst_unused:UNUSED_PAD src0_sel:WORD_1 src1_sel:DWORD
	v_fma_f16 v4, v193, v6, -v4
	v_pack_b32_f16 v4, v7, v4
	ds_write2_b32 v13, v5, v4 offset0:82 offset1:150
	s_and_saveexec_b64 s[16:17], s[0:1]
	s_cbranch_execz .LBB0_3
; %bb.2:
	v_mov_b32_e32 v4, s15
	v_add_co_u32_e32 v0, vcc, s14, v0
	v_addc_co_u32_e32 v1, vcc, v1, v4, vcc
	global_load_dword v4, v[0:1], off
	global_load_dword v5, v[183:184], off offset:1904
	v_mov_b32_e32 v6, s3
	v_add_co_u32_e32 v0, vcc, s2, v0
	v_addc_co_u32_e32 v1, vcc, v1, v6, vcc
	global_load_dword v6, v[0:1], off
	global_load_dword v7, v[183:184], off offset:3944
	s_waitcnt vmcnt(3)
	v_lshrrev_b32_e32 v0, 16, v4
	s_waitcnt vmcnt(2)
	v_mul_f16_sdwa v1, v5, v4 dst_sel:DWORD dst_unused:UNUSED_PAD src0_sel:WORD_1 src1_sel:DWORD
	v_mul_f16_sdwa v8, v5, v0 dst_sel:DWORD dst_unused:UNUSED_PAD src0_sel:WORD_1 src1_sel:DWORD
	v_fma_f16 v0, v5, v0, -v1
	v_fma_f16 v4, v5, v4, v8
	v_pack_b32_f16 v0, v4, v0
	s_waitcnt vmcnt(1)
	v_lshrrev_b32_e32 v1, 16, v6
	s_waitcnt vmcnt(0)
	v_mul_f16_sdwa v9, v7, v6 dst_sel:DWORD dst_unused:UNUSED_PAD src0_sel:WORD_1 src1_sel:DWORD
	v_mul_f16_sdwa v5, v7, v1 dst_sel:DWORD dst_unused:UNUSED_PAD src0_sel:WORD_1 src1_sel:DWORD
	v_fma_f16 v1, v7, v1, -v9
	v_fma_f16 v4, v7, v6, v5
	ds_write_b32 v63, v0 offset:1904
	v_pack_b32_f16 v0, v4, v1
	ds_write_b32 v63, v0 offset:3944
.LBB0_3:
	s_or_b64 exec, exec, s[16:17]
	s_waitcnt lgkmcnt(0)
	s_barrier
	ds_read2_b32 v[6:7], v63 offset1:68
	ds_read2_b32 v[0:1], v12 offset0:152 offset1:254
	ds_read2_b32 v[8:9], v2 offset0:66 offset1:134
	;; [unrolled: 1-line block ×6, first 2 shown]
                                        ; implicit-def: $vgpr14
                                        ; implicit-def: $vgpr15
	s_and_saveexec_b64 s[2:3], s[0:1]
	s_cbranch_execz .LBB0_5
; %bb.4:
	ds_read_b32 v14, v63 offset:1904
	ds_read_b32 v15, v63 offset:3944
.LBB0_5:
	s_or_b64 exec, exec, s[2:3]
	s_movk_i32 s2, 0xcc
	v_add_co_u32_e32 v35, vcc, s2, v76
	s_movk_i32 s2, 0x110
	s_load_dwordx2 s[4:5], s[4:5], 0x8
	v_add_co_u32_e32 v37, vcc, s2, v76
	s_movk_i32 s2, 0x154
	v_add_co_u32_e32 v42, vcc, s2, v76
	s_movk_i32 s2, 0x198
	;; [unrolled: 2-line block ×3, first 2 shown]
	v_add_co_u32_e32 v41, vcc, 0x44, v76
	v_add_co_u32_e32 v40, vcc, 0x88, v76
	;; [unrolled: 1-line block ×3, first 2 shown]
	s_waitcnt lgkmcnt(0)
	v_pk_add_f16 v17, v6, v1 neg_lo:[0,1] neg_hi:[0,1]
	v_pk_add_f16 v19, v7, v8 neg_lo:[0,1] neg_hi:[0,1]
	;; [unrolled: 1-line block ×8, first 2 shown]
	v_pk_fma_f16 v26, v14, 2.0, v27 op_sel_hi:[1,0,1] neg_lo:[0,0,1] neg_hi:[0,0,1]
	v_lshl_add_u32 v205, v76, 3, v79
	v_pk_fma_f16 v16, v6, 2.0, v17 op_sel_hi:[1,0,1] neg_lo:[0,0,1] neg_hi:[0,0,1]
	v_lshl_add_u32 v156, v41, 3, v79
	;; [unrolled: 2-line block ×8, first 2 shown]
	s_barrier
	ds_write_b64 v205, v[16:17]
	ds_write_b64 v156, v[18:19]
	;; [unrolled: 1-line block ×7, first 2 shown]
	s_and_saveexec_b64 s[2:3], s[0:1]
	s_cbranch_execz .LBB0_7
; %bb.6:
	ds_write_b64 v152, v[26:27]
.LBB0_7:
	s_or_b64 exec, exec, s[2:3]
	v_cmp_gt_u16_e32 vcc, 60, v76
	v_lshrrev_b32_e32 v43, 16, v16
	v_lshrrev_b32_e32 v44, 16, v18
	;; [unrolled: 1-line block ×7, first 2 shown]
	s_waitcnt lgkmcnt(0)
	s_barrier
	s_waitcnt lgkmcnt(0)
                                        ; implicit-def: $vgpr62
                                        ; implicit-def: $vgpr91
	s_and_saveexec_b64 s[2:3], vcc
	s_cbranch_execz .LBB0_9
; %bb.8:
	v_add_u32_e32 v0, 0x200, v63
	ds_read2_b32 v[16:17], v63 offset1:60
	ds_read2_b32 v[18:19], v63 offset0:120 offset1:180
	ds_read2_b32 v[20:21], v0 offset0:112 offset1:172
	v_add_u32_e32 v0, 0x400, v63
	ds_read2_b32 v[22:23], v0 offset0:104 offset1:164
	v_add_u32_e32 v0, 0x600, v63
	;; [unrolled: 2-line block ×5, first 2 shown]
	ds_read_b32 v62, v63 offset:3840
	ds_read2_b32 v[26:27], v0 offset0:72 offset1:132
	s_waitcnt lgkmcnt(8)
	v_lshrrev_b32_e32 v43, 16, v16
	s_waitcnt lgkmcnt(7)
	v_lshrrev_b32_e32 v44, 16, v18
	;; [unrolled: 2-line block ×8, first 2 shown]
.LBB0_9:
	s_or_b64 exec, exec, s[2:3]
	v_and_b32_e32 v0, 1, v76
	v_lshlrev_b32_e32 v45, 6, v0
	global_load_dwordx4 v[0:3], v45, s[4:5]
	global_load_dwordx4 v[4:7], v45, s[4:5] offset:16
	global_load_dwordx4 v[8:11], v45, s[4:5] offset:32
	global_load_dwordx4 v[12:15], v45, s[4:5] offset:48
	v_lshrrev_b32_e32 v61, 16, v19
	v_lshrrev_b32_e32 v90, 16, v21
	;; [unrolled: 1-line block ×3, first 2 shown]
	s_waitcnt lgkmcnt(0)
	v_lshrrev_b32_e32 v98, 16, v27
	v_lshrrev_b32_e32 v92, 16, v23
	;; [unrolled: 1-line block ×5, first 2 shown]
	s_movk_i32 s14, 0x3b76
	v_lshrrev_b32_e32 v94, 16, v32
	s_movk_i32 s15, 0x39e9
	s_movk_i32 s16, 0x2de8
	;; [unrolled: 1-line block ×3, first 2 shown]
	s_mov_b32 s18, 0xb8d2
	s_mov_b32 s19, 0xbbdd
	;; [unrolled: 1-line block ×9, first 2 shown]
	s_movk_i32 s38, 0x31e1
	s_mov_b32 s27, 0xb1e1
	s_movk_i32 s26, 0x3bb2
	s_mov_b32 s33, 0xbbb2
	s_movk_i32 s31, 0x3836
	s_movk_i32 s23, 0x3964
	s_mov_b32 s24, 0xb836
	s_movk_i32 s35, 0x3b29
	s_movk_i32 s28, 0x35c8
	s_waitcnt vmcnt(0)
	s_barrier
	v_mul_f16_sdwa v46, v61, v2 dst_sel:DWORD dst_unused:UNUSED_PAD src0_sel:DWORD src1_sel:WORD_1
	v_mul_f16_sdwa v100, v19, v2 dst_sel:DWORD dst_unused:UNUSED_PAD src0_sel:DWORD src1_sel:WORD_1
	;; [unrolled: 1-line block ×17, first 2 shown]
	v_fma_f16 v46, v19, v2, -v46
	v_fma_f16 v51, v22, v5, -v51
	v_fma_f16 v19, v61, v2, v100
	v_fma_f16 v22, v60, v5, v103
	;; [unrolled: 1-line block ×4, first 2 shown]
	v_mul_f16_sdwa v57, v89, v11 dst_sel:DWORD dst_unused:UNUSED_PAD src0_sel:DWORD src1_sel:WORD_1
	v_fma_f16 v45, v18, v1, -v45
	v_fma_f16 v50, v21, v4, -v50
	v_fma_f16 v55, v31, v9, -v55
	v_fma_f16 v18, v44, v1, v99
	v_fma_f16 v21, v90, v4, v102
	;; [unrolled: 1-line block ×4, first 2 shown]
	v_fma_f16 v90, v17, v0, -v112
	v_fma_f16 v88, v27, v14, -v115
	v_fma_f16 v27, v98, v14, v116
	v_fma_f16 v89, v62, v15, -v117
	v_sub_f16_e32 v151, v61, v60
	v_mul_f16_sdwa v52, v92, v6 dst_sel:DWORD dst_unused:UNUSED_PAD src0_sel:DWORD src1_sel:WORD_1
	v_mul_f16_sdwa v104, v23, v6 dst_sel:DWORD dst_unused:UNUSED_PAD src0_sel:DWORD src1_sel:WORD_1
	;; [unrolled: 1-line block ×5, first 2 shown]
	v_add_f16_e32 v100, v90, v89
	v_sub_f16_e32 v160, v18, v27
	v_mul_f16_e32 v91, 0xb5c8, v151
	v_mul_f16_sdwa v54, v93, v8 dst_sel:DWORD dst_unused:UNUSED_PAD src0_sel:DWORD src1_sel:WORD_1
	v_mul_f16_sdwa v106, v25, v8 dst_sel:DWORD dst_unused:UNUSED_PAD src0_sel:DWORD src1_sel:WORD_1
	;; [unrolled: 1-line block ×3, first 2 shown]
	v_fma_f16 v52, v23, v6, -v52
	v_fma_f16 v53, v24, v7, -v53
	;; [unrolled: 1-line block ×3, first 2 shown]
	v_fma_f16 v23, v92, v6, v104
	v_fma_f16 v24, v87, v7, v105
	v_fma_f16 v87, v26, v13, -v113
	v_add_f16_e32 v104, v45, v88
	v_fma_f16 v33, v100, s14, v91
	v_mul_f16_e32 v92, 0xb964, v160
	v_sub_f16_e32 v113, v90, v89
	v_mul_f16_sdwa v56, v94, v10 dst_sel:DWORD dst_unused:UNUSED_PAD src0_sel:DWORD src1_sel:WORD_1
	v_mul_f16_sdwa v108, v32, v10 dst_sel:DWORD dst_unused:UNUSED_PAD src0_sel:DWORD src1_sel:WORD_1
	;; [unrolled: 1-line block ×3, first 2 shown]
	v_fma_f16 v54, v25, v8, -v54
	v_fma_f16 v58, v34, v12, -v58
	v_fma_f16 v25, v93, v8, v106
	v_add_f16_e32 v33, v16, v33
	v_fma_f16 v34, v104, s15, v92
	v_add_f16_e32 v166, v61, v60
	v_mul_f16_e32 v93, 0xb5c8, v113
	v_sub_f16_e32 v115, v45, v88
	v_mul_f16_sdwa v48, v59, v3 dst_sel:DWORD dst_unused:UNUSED_PAD src0_sel:DWORD src1_sel:WORD_1
	v_mul_f16_sdwa v101, v20, v3 dst_sel:DWORD dst_unused:UNUSED_PAD src0_sel:DWORD src1_sel:WORD_1
	v_fma_f16 v56, v32, v10, -v56
	v_fma_f16 v32, v94, v10, v108
	v_add_f16_e32 v33, v34, v33
	v_fma_f16 v34, v166, s14, -v93
	v_add_f16_e32 v167, v18, v27
	v_mul_f16_e32 v94, 0xb964, v115
	v_mul_f16_sdwa v114, v26, v13 dst_sel:DWORD dst_unused:UNUSED_PAD src0_sel:DWORD src1_sel:WORD_1
	v_fma_f16 v48, v20, v3, -v48
	v_fma_f16 v20, v59, v3, v101
	v_add_f16_e32 v34, v43, v34
	v_fma_f16 v59, v167, s15, -v94
	v_mul_f16_e32 v96, 0xb964, v151
	v_fma_f16 v26, v97, v13, v114
	v_add_f16_e32 v34, v59, v34
	v_fma_f16 v59, v100, s15, v96
	v_mul_f16_e32 v97, 0xbbf7, v160
	v_add_f16_e32 v59, v16, v59
	v_fma_f16 v62, v104, s16, v97
	v_mul_f16_e32 v99, 0xb964, v113
	v_add_f16_e32 v59, v62, v59
	v_fma_f16 v62, v166, s15, -v99
	v_mul_f16_e32 v101, 0xbbf7, v115
	v_fma_f16 v17, v95, v12, v110
	v_add_f16_e32 v62, v43, v62
	v_fma_f16 v95, v167, s16, -v101
	v_mul_f16_e32 v106, 0xbb29, v151
	v_add_f16_e32 v62, v95, v62
	v_fma_f16 v95, v100, s17, v106
	v_mul_f16_e32 v109, 0xba62, v160
	v_add_f16_e32 v95, v16, v95
	v_fma_f16 v98, v104, s18, v109
	v_mul_f16_e32 v114, 0xbb29, v113
	v_add_f16_e32 v102, v98, v95
	v_fma_f16 v95, v166, s17, -v114
	v_mul_f16_e32 v116, 0xba62, v115
	v_add_f16_e32 v95, v43, v95
	v_fma_f16 v98, v167, s18, -v116
	v_sub_f16_e32 v169, v19, v26
	v_add_f16_e32 v105, v98, v95
	v_add_f16_e32 v121, v46, v87
	v_mul_f16_e32 v95, 0xbb29, v169
	v_fma_f16 v98, v121, s17, v95
	v_sub_f16_e32 v127, v46, v87
	v_add_f16_e32 v33, v98, v33
	v_add_f16_e32 v171, v19, v26
	v_mul_f16_e32 v98, 0xbb29, v127
	v_fma_f16 v103, v171, s17, -v98
	v_add_f16_e32 v34, v103, v34
	v_mul_f16_e32 v103, 0xba62, v169
	v_fma_f16 v107, v121, s18, v103
	v_mul_f16_e32 v111, 0xba62, v127
	v_add_f16_e32 v59, v107, v59
	v_fma_f16 v107, v171, s18, -v111
	v_mul_f16_e32 v118, 0x31e1, v169
	v_add_f16_e32 v62, v107, v62
	v_fma_f16 v107, v121, s19, v118
	v_mul_f16_e32 v123, 0x31e1, v127
	v_add_f16_e32 v107, v107, v102
	v_fma_f16 v102, v171, s19, -v123
	v_sub_f16_e32 v170, v20, v17
	v_add_f16_e32 v105, v102, v105
	v_add_f16_e32 v128, v48, v58
	v_mul_f16_e32 v102, 0xbbf7, v170
	v_fma_f16 v108, v128, s16, v102
	v_sub_f16_e32 v135, v48, v58
	v_add_f16_e32 v33, v108, v33
	v_add_f16_e32 v173, v20, v17
	v_mul_f16_e32 v108, 0xbbf7, v135
	v_fma_f16 v110, v173, s16, -v108
	v_mul_f16_e32 v112, 0xb1e1, v170
	v_add_f16_e32 v34, v110, v34
	v_fma_f16 v110, v128, s19, v112
	v_mul_f16_e32 v120, 0xb1e1, v135
	v_add_f16_e32 v59, v110, v59
	v_fma_f16 v110, v173, s19, -v120
	v_mul_f16_e32 v125, 0x3bb2, v170
	v_add_f16_e32 v62, v110, v62
	v_fma_f16 v110, v128, s20, v125
	v_mul_f16_e32 v131, 0x3bb2, v135
	v_add_f16_e32 v107, v110, v107
	v_fma_f16 v110, v173, s20, -v131
	v_sub_f16_e32 v172, v21, v44
	v_add_f16_e32 v105, v110, v105
	v_add_f16_e32 v137, v50, v57
	v_mul_f16_e32 v110, 0xbbb2, v172
	v_fma_f16 v117, v137, s20, v110
	v_sub_f16_e32 v143, v50, v57
	v_add_f16_e32 v33, v117, v33
	v_add_f16_e32 v175, v21, v44
	v_mul_f16_e32 v117, 0xbbb2, v143
	v_fma_f16 v119, v175, s20, -v117
	v_mul_f16_e32 v122, 0x3836, v172
	v_add_f16_e32 v34, v119, v34
	;; [unrolled: 22-line block ×4, first 2 shown]
	v_fma_f16 v133, v154, s17, v138
	v_mul_f16_e32 v142, 0x3b29, v163
	v_add_f16_e32 v59, v133, v59
	v_fma_f16 v133, v180, s17, -v142
	v_mul_f16_e32 v147, 0xbbf7, v176
	v_add_f16_e32 v62, v133, v62
	v_fma_f16 v133, v154, s16, v147
	v_mul_f16_e32 v157, 0xbbf7, v163
	v_sub_f16_e32 v179, v24, v25
	v_add_f16_e32 v148, v133, v107
	v_fma_f16 v107, v180, s16, -v157
	v_add_f16_e32 v164, v53, v54
	v_mul_f16_e32 v133, 0xb1e1, v179
	v_sub_f16_e32 v168, v53, v54
	v_add_f16_e32 v150, v107, v105
	v_fma_f16 v105, v164, s19, v133
	v_add_f16_e32 v178, v24, v25
	v_mul_f16_e32 v139, 0xb1e1, v168
	v_add_f16_e32 v105, v105, v33
	v_fma_f16 v33, v178, s19, -v139
	v_mul_f16_e32 v145, 0x35c8, v179
	v_add_f16_e32 v107, v33, v34
	v_fma_f16 v33, v164, s14, v145
	v_mul_f16_e32 v149, 0x35c8, v168
	v_add_f16_e32 v59, v33, v59
	v_fma_f16 v33, v178, s14, -v149
	v_mul_f16_e32 v162, 0xb836, v179
	v_mul_f16_e32 v165, 0xb836, v168
	v_add_f16_e32 v62, v33, v62
	v_fma_f16 v33, v164, s21, v162
	v_fma_f16 v34, v178, s21, -v165
	v_add_f16_e32 v33, v33, v148
	v_add_f16_e32 v34, v34, v150
	s_and_saveexec_b64 s[2:3], vcc
	s_cbranch_execz .LBB0_11
; %bb.10:
	v_mul_f16_e32 v28, 0x3b76, v100
	buffer_store_dword v28, off, s[40:43], 0 ; 4-byte Folded Spill
	v_mul_f16_e32 v28, 0x3b76, v166
	buffer_store_dword v28, off, s[40:43], 0 offset:24 ; 4-byte Folded Spill
	v_mul_f16_e32 v28, 0x39e9, v100
	buffer_store_dword v28, off, s[40:43], 0 offset:60 ; 4-byte Folded Spill
	;; [unrolled: 2-line block ×18, first 2 shown]
	v_mul_f16_e32 v28, 0xb461, v137
	v_mul_f16_e32 v219, 0x2de8, v166
	s_movk_i32 s36, 0x3bf7
	buffer_store_dword v28, off, s[40:43], 0 offset:20 ; 4-byte Folded Spill
	v_mul_f16_e32 v28, 0xb461, v175
	v_fma_f16 v150, v113, s36, v219
	v_mul_f16_e32 v220, 0xbbdd, v167
	buffer_store_dword v28, off, s[40:43], 0 offset:56 ; 4-byte Folded Spill
	v_mul_f16_e32 v28, 0xbacd, v137
	v_add_f16_e32 v150, v43, v150
	v_fma_f16 v221, v115, s38, v220
	buffer_store_dword v28, off, s[40:43], 0 offset:88 ; 4-byte Folded Spill
	v_mul_f16_e32 v28, 0xbacd, v175
	v_add_f16_e32 v150, v221, v150
	v_mul_f16_e32 v221, 0xb461, v171
	buffer_store_dword v28, off, s[40:43], 0 offset:124 ; 4-byte Folded Spill
	v_mul_f16_e32 v28, 0xb8d2, v144
	v_fma_f16 v222, v127, s33, v221
	buffer_store_dword v28, off, s[40:43], 0 offset:28 ; 4-byte Folded Spill
	v_mul_f16_e32 v28, 0xb8d2, v177
	v_add_f16_e32 v150, v222, v150
	v_mul_f16_e32 v222, 0x3b76, v173
	buffer_store_dword v28, off, s[40:43], 0 offset:64 ; 4-byte Folded Spill
	v_mul_f16_e32 v28, 0xb461, v144
	v_fma_f16 v223, v135, s29, v222
	buffer_store_dword v28, off, s[40:43], 0 offset:100 ; 4-byte Folded Spill
	v_mul_f16_e32 v28, 0xb461, v177
	v_add_f16_e32 v150, v223, v150
	v_mul_f16_e32 v223, 0x3722, v175
	buffer_store_dword v28, off, s[40:43], 0 offset:132 ; 4-byte Folded Spill
	v_mul_f16_e32 v28, 0xbacd, v154
	v_fma_f16 v224, v143, s35, v223
	buffer_store_dword v28, off, s[40:43], 0 offset:36 ; 4-byte Folded Spill
	v_mul_f16_e32 v28, 0xbacd, v180
	v_add_f16_e32 v150, v224, v150
	v_mul_f16_e32 v224, 0xbacd, v177
	buffer_store_dword v28, off, s[40:43], 0 offset:72 ; 4-byte Folded Spill
	v_mul_f16_e32 v28, 0x3722, v154
	v_fma_f16 v225, v153, s31, v224
	buffer_store_dword v28, off, s[40:43], 0 offset:108 ; 4-byte Folded Spill
	v_mul_f16_e32 v28, 0x3722, v180
	v_add_f16_e32 v150, v225, v150
	v_mul_f16_e32 v225, 0xb8d2, v180
	buffer_store_dword v28, off, s[40:43], 0 offset:140 ; 4-byte Folded Spill
	v_mul_f16_e32 v28, 0xbbdd, v164
	v_fma_f16 v226, v163, s30, v225
	buffer_store_dword v28, off, s[40:43], 0 offset:48 ; 4-byte Folded Spill
	v_mul_f16_e32 v28, 0xbbdd, v178
	v_add_f16_e32 v150, v226, v150
	v_mul_f16_e32 v226, 0x39e9, v178
	buffer_store_dword v28, off, s[40:43], 0 offset:80 ; 4-byte Folded Spill
	v_mul_f16_e32 v28, 0x3b76, v164
	v_fma_f16 v227, v168, s34, v226
	buffer_store_dword v28, off, s[40:43], 0 offset:116 ; 4-byte Folded Spill
	v_add_f16_e32 v28, v227, v150
	v_mul_f16_e32 v227, 0xbbf7, v151
	v_fma_f16 v228, v100, s16, v227
	v_mul_f16_e32 v229, 0xb1e1, v160
	v_add_f16_e32 v228, v16, v228
	v_fma_f16 v230, v104, s19, v229
	v_add_f16_e32 v228, v230, v228
	v_mul_f16_e32 v230, 0x3bb2, v169
	v_fma_f16 v231, v121, s20, v230
	v_add_f16_e32 v228, v231, v228
	v_mul_f16_e32 v231, 0x35c8, v170
	v_fma_f16 v232, v128, s14, v231
	v_add_f16_e32 v228, v232, v228
	v_mul_f16_e32 v232, 0xbb29, v172
	v_fma_f16 v233, v137, s17, v232
	v_add_f16_e32 v228, v233, v228
	v_mul_f16_e32 v233, 0xb836, v174
	v_fma_f16 v234, v144, s21, v233
	v_add_f16_e32 v228, v234, v228
	v_mul_f16_e32 v234, 0x3a62, v176
	v_fma_f16 v235, v154, s18, v234
	v_add_f16_e32 v228, v235, v228
	v_mul_f16_e32 v235, 0x3964, v179
	v_fma_f16 v236, v164, s15, v235
	buffer_store_dword v28, off, s[40:43], 0 offset:4 ; 4-byte Folded Spill
	v_add_f16_e32 v28, v236, v228
	v_mul_f16_e32 v236, 0xb461, v166
	v_fma_f16 v237, v113, s26, v236
	v_mul_f16_e32 v238, 0xbacd, v167
	v_add_f16_e32 v237, v43, v237
	v_fma_f16 v239, v115, s24, v238
	v_add_f16_e32 v237, v239, v237
	v_mul_f16_e32 v239, 0x39e9, v171
	v_fma_f16 v240, v127, s34, v239
	v_add_f16_e32 v237, v240, v237
	v_mul_f16_e32 v240, 0x3722, v173
	;; [unrolled: 3-line block ×5, first 2 shown]
	v_fma_f16 v244, v163, s28, v243
	s_movk_i32 s37, 0x3a62
	v_add_f16_e32 v237, v244, v237
	v_mul_f16_e32 v244, 0xb8d2, v178
	v_fma_f16 v245, v168, s37, v244
	buffer_store_dword v28, off, s[40:43], 0 offset:44 ; 4-byte Folded Spill
	v_add_f16_e32 v28, v245, v237
	v_mul_f16_e32 v245, 0xbbb2, v151
	v_fma_f16 v246, v100, s20, v245
	v_mul_f16_e32 v247, 0x3836, v160
	v_add_f16_e32 v246, v16, v246
	v_fma_f16 v248, v104, s21, v247
	v_add_f16_e32 v246, v248, v246
	v_mul_f16_e32 v248, 0x3964, v169
	v_fma_f16 v249, v121, s15, v248
	v_add_f16_e32 v246, v249, v246
	v_mul_f16_e32 v249, 0xbb29, v170
	;; [unrolled: 3-line block ×7, first 2 shown]
	v_fma_f16 v255, v113, s37, v254
	v_mul_f16_e32 v81, 0xb461, v167
	v_add_f16_e32 v255, v43, v255
	v_fma_f16 v80, v115, s33, v81
	v_add_f16_e32 v80, v80, v255
	v_mul_f16_e32 v255, 0x3b76, v171
	v_fma_f16 v47, v127, s28, v255
	v_add_f16_e32 v47, v47, v80
	v_mul_f16_e32 v80, 0xbacd, v173
	;; [unrolled: 3-line block ×7, first 2 shown]
	buffer_store_dword v28, off, s[40:43], 0 offset:96 ; 4-byte Folded Spill
	v_fma_f16 v86, v100, s18, v85
	v_mul_f16_e32 v28, 0x3bb2, v160
	v_add_f16_e32 v86, v16, v86
	v_fma_f16 v29, v104, s20, v28
	v_add_f16_e32 v29, v29, v86
	v_mul_f16_e32 v86, 0xb5c8, v169
	v_fma_f16 v148, v121, s14, v86
	v_add_f16_e32 v29, v148, v29
	v_mul_f16_e32 v148, 0xb836, v170
	;; [unrolled: 3-line block ×3, first 2 shown]
	v_mov_b32_e32 v47, v152
	v_fma_f16 v152, v137, s16, v150
	v_add_f16_e32 v29, v152, v29
	v_mul_f16_e32 v152, 0xb964, v174
	v_fma_f16 v155, v144, s15, v152
	v_add_f16_e32 v29, v155, v29
	v_mul_f16_e32 v155, 0xb1e1, v176
	v_mov_b32_e32 v192, v156
	v_fma_f16 v156, v154, s19, v155
	v_add_f16_e32 v29, v156, v29
	v_mul_f16_e32 v156, 0x3b29, v179
	v_fma_f16 v158, v164, s17, v156
	v_add_f16_e32 v198, v158, v29
	v_mul_f16_e32 v158, 0xbacd, v166
	v_fma_f16 v159, v113, s31, v158
	v_mul_f16_e32 v64, 0x3722, v167
	v_add_f16_e32 v159, v43, v159
	v_mov_b32_e32 v29, v161
	v_fma_f16 v161, v115, s22, v64
	v_add_f16_e32 v159, v161, v159
	v_mul_f16_e32 v161, 0x2de8, v171
	v_fma_f16 v210, v127, s36, v161
	v_add_f16_e32 v159, v210, v159
	v_mul_f16_e32 v210, 0xb8d2, v173
	;; [unrolled: 3-line block ×7, first 2 shown]
	v_mov_b32_e32 v159, v181
	v_fma_f16 v181, v100, s21, v200
	v_mul_f16_e32 v185, 0x3b29, v160
	v_add_f16_e32 v181, v16, v181
	v_fma_f16 v186, v104, s17, v185
	v_add_f16_e32 v181, v186, v181
	v_mul_f16_e32 v186, 0xbbf7, v169
	v_fma_f16 v211, v121, s16, v186
	v_add_f16_e32 v181, v211, v181
	v_mul_f16_e32 v211, 0x3a62, v170
	;; [unrolled: 3-line block ×6, first 2 shown]
	v_fma_f16 v158, v113, s24, v158
	v_mul_f16_e32 v212, 0x3722, v166
	v_fma_f16 v182, v164, s20, v201
	v_mul_f16_e32 v166, 0xbbdd, v166
	v_add_f16_e32 v158, v43, v158
	v_fma_f16 v64, v115, s35, v64
	v_mul_f16_e32 v207, 0xb8d2, v167
	v_add_f16_e32 v181, v182, v181
	;; [unrolled: 3-line block ×3, first 2 shown]
	v_fma_f16 v158, v127, s25, v161
	v_mov_b32_e32 v161, v29
	buffer_load_dword v29, off, s[40:43], 0 offset:128 ; 4-byte Folded Reload
	v_mul_f16_e32 v203, 0xbbdd, v171
	v_add_f16_e32 v182, v43, v182
	v_fma_f16 v237, v115, s29, v167
	v_mul_f16_e32 v171, 0xbacd, v171
	v_mul_f16_e32 v202, 0xb461, v173
	v_add_f16_e32 v182, v237, v182
	v_fma_f16 v237, v127, s31, v171
	v_mul_f16_e32 v173, 0x39e9, v173
	;; [unrolled: 4-line block ×5, first 2 shown]
	v_add_f16_e32 v182, v237, v182
	v_fma_f16 v237, v163, s26, v180
	v_add_f16_e32 v182, v237, v182
	v_mul_f16_e32 v237, 0x2de8, v178
	v_fma_f16 v206, v168, s25, v237
	v_mul_f16_e32 v151, 0xb1e1, v151
	v_add_f16_e32 v182, v206, v182
	v_fma_f16 v206, v100, s19, v151
	v_mul_f16_e32 v160, 0x35c8, v160
	v_fma_f16 v151, v100, s19, -v151
	v_fma_f16 v187, v104, s14, v160
	v_mul_f16_e32 v169, 0xb836, v169
	v_add_f16_e32 v151, v16, v151
	v_fma_f16 v160, v104, s14, -v160
	v_mul_f16_e32 v170, 0x3964, v170
	v_add_f16_e32 v151, v160, v151
	v_fma_f16 v160, v121, s21, -v169
	v_add_f16_e32 v64, v158, v64
	v_fma_f16 v158, v135, s37, v210
	v_mul_f16_e32 v172, 0xba62, v172
	v_add_f16_e32 v151, v160, v151
	v_fma_f16 v160, v128, s15, -v170
	v_add_f16_e32 v64, v158, v64
	v_fma_f16 v158, v143, s29, v190
	;; [unrolled: 5-line block ×5, first 2 shown]
	v_add_f16_e32 v151, v160, v151
	v_fma_f16 v160, v164, s16, -v179
	v_add_f16_e32 v64, v158, v64
	v_fma_f16 v158, v100, s21, -v200
	v_add_f16_e32 v151, v160, v151
	v_add_f16_e32 v158, v16, v158
	v_fma_f16 v160, v104, s17, -v185
	v_add_f16_e32 v158, v160, v158
	v_fma_f16 v160, v121, s16, -v186
	v_add_f16_e32 v158, v160, v158
	v_fma_f16 v160, v128, s18, -v211
	v_add_f16_e32 v158, v160, v158
	v_fma_f16 v160, v137, s14, -v191
	v_add_f16_e32 v158, v160, v158
	v_fma_f16 v160, v144, s19, -v217
	v_add_f16_e32 v158, v160, v158
	v_fma_f16 v160, v154, s15, -v196
	v_add_f16_e32 v158, v160, v158
	v_fma_f16 v160, v164, s20, -v201
	v_add_f16_e32 v158, v160, v158
	v_fma_f16 v160, v113, s30, v254
	v_add_f16_e32 v160, v43, v160
	v_fma_f16 v81, v115, s26, v81
	v_add_f16_e32 v81, v81, v160
	v_fma_f16 v160, v127, s29, v255
	v_add_f16_e32 v81, v160, v81
	v_fma_f16 v80, v135, s24, v80
	v_add_f16_e32 v80, v80, v81
	v_fma_f16 v49, v143, s36, v49
	v_add_f16_e32 v49, v49, v80
	v_fma_f16 v80, v153, s34, v82
	v_add_f16_e32 v49, v80, v49
	v_fma_f16 v80, v163, s27, v83
	v_add_f16_e32 v49, v80, v49
	v_fma_f16 v80, v168, s35, v84
	v_add_f16_e32 v49, v80, v49
	v_fma_f16 v80, v100, s18, -v85
	v_add_f16_e32 v80, v16, v80
	v_fma_f16 v28, v104, s20, -v28
	v_add_f16_e32 v28, v28, v80
	v_fma_f16 v80, v121, s14, -v86
	v_add_f16_e32 v28, v80, v28
	v_fma_f16 v80, v128, s21, -v148
	v_add_f16_e32 v28, v80, v28
	v_fma_f16 v80, v137, s16, -v150
	v_add_f16_e32 v28, v80, v28
	v_fma_f16 v80, v144, s15, -v152
	v_add_f16_e32 v28, v80, v28
	v_fma_f16 v80, v154, s19, -v155
	v_add_f16_e32 v28, v80, v28
	v_fma_f16 v80, v164, s17, -v156
	v_add_f16_e32 v28, v80, v28
	v_fma_f16 v80, v113, s33, v236
	v_add_f16_e32 v80, v43, v80
	v_fma_f16 v81, v115, s31, v238
	v_add_f16_e32 v80, v81, v80
	v_fma_f16 v81, v127, s23, v239
	v_add_f16_e32 v80, v81, v80
	v_fma_f16 v81, v135, s22, v240
	v_add_f16_e32 v80, v81, v80
	v_fma_f16 v81, v143, s27, v241
	v_add_f16_e32 v80, v81, v80
	v_fma_f16 v81, v153, s36, v242
	v_add_f16_e32 v80, v81, v80
	v_fma_f16 v81, v163, s29, v243
	v_add_f16_e32 v80, v81, v80
	v_fma_f16 v81, v168, s30, v244
	v_add_f16_e32 v80, v81, v80
	v_fma_f16 v81, v100, s20, -v245
	;; [unrolled: 32-line block ×3, first 2 shown]
	v_add_f16_e32 v83, v16, v83
	v_fma_f16 v84, v104, s19, -v229
	v_add_f16_e32 v83, v84, v83
	v_fma_f16 v84, v121, s20, -v230
	;; [unrolled: 2-line block ×6, first 2 shown]
	v_add_f16_e32 v206, v16, v206
	v_add_f16_e32 v83, v84, v83
	v_fma_f16 v84, v164, s15, -v235
	v_add_f16_e32 v187, v187, v206
	v_fma_f16 v206, v121, s21, v169
	v_add_f16_e32 v83, v84, v83
	v_add_f16_e32 v84, v114, v212
	v_add_f16_e32 v187, v206, v187
	v_fma_f16 v206, v128, s15, v170
	v_add_f16_e32 v84, v43, v84
	v_add_f16_e32 v85, v116, v207
	;; [unrolled: 4-line block ×6, first 2 shown]
	v_add_f16_e32 v187, v206, v187
	v_mul_f16_e32 v206, 0x3b76, v178
	v_mul_f16_e32 v178, 0xbacd, v178
	v_add_f16_e32 v84, v85, v84
	v_add_f16_e32 v85, v157, v215
	;; [unrolled: 1-line block ×5, first 2 shown]
	s_waitcnt vmcnt(0)
	v_sub_f16_e32 v85, v29, v106
	buffer_load_dword v29, off, s[40:43], 0 offset:136 ; 4-byte Folded Reload
	v_add_f16_e32 v85, v16, v85
	v_mul_f16_e32 v218, 0xb461, v128
	v_mul_f16_e32 v213, 0x39e9, v137
	;; [unrolled: 1-line block ×3, first 2 shown]
	v_fma_f16 v166, v113, s27, v166
	v_mul_f16_e32 v214, 0x2de8, v154
	v_add_f16_e32 v166, v43, v166
	v_fma_f16 v167, v115, s28, v167
	v_add_f16_e32 v166, v167, v166
	v_mul_f16_e32 v167, 0xbacd, v164
	v_fma_f16 v171, v127, s24, v171
	v_add_f16_e32 v166, v171, v166
	v_fma_f16 v171, v135, s23, v173
	v_add_f16_e32 v166, v171, v166
	;; [unrolled: 2-line block ×6, first 2 shown]
	s_mov_b32 s14, 0x5040100
	v_mov_b32_e32 v152, v47
	v_mov_b32_e32 v156, v192
	s_waitcnt vmcnt(0)
	v_sub_f16_e32 v86, v29, v109
	buffer_load_dword v29, off, s[40:43], 0 offset:144 ; 4-byte Folded Reload
	v_add_f16_e32 v85, v86, v85
	s_waitcnt vmcnt(0)
	v_sub_f16_e32 v86, v29, v118
	buffer_load_dword v29, off, s[40:43], 0 offset:92 ; 4-byte Folded Reload
	v_add_f16_e32 v85, v86, v85
	v_sub_f16_e32 v86, v218, v125
	v_add_f16_e32 v85, v86, v85
	v_sub_f16_e32 v86, v213, v134
	v_add_f16_e32 v85, v86, v85
	v_sub_f16_e32 v86, v208, v141
	v_add_f16_e32 v85, v86, v85
	v_sub_f16_e32 v86, v214, v147
	v_add_f16_e32 v85, v86, v85
	v_sub_f16_e32 v86, v167, v162
	v_add_f16_e32 v85, v86, v85
	s_waitcnt vmcnt(0)
	v_add_f16_e32 v86, v99, v29
	buffer_load_dword v29, off, s[40:43], 0 offset:104 ; 4-byte Folded Reload
	v_add_f16_e32 v86, v43, v86
	s_waitcnt vmcnt(0)
	v_add_f16_e32 v99, v101, v29
	buffer_load_dword v29, off, s[40:43], 0 offset:112 ; 4-byte Folded Reload
	v_add_f16_e32 v86, v99, v86
	s_waitcnt vmcnt(0)
	v_add_f16_e32 v99, v111, v29
	buffer_load_dword v29, off, s[40:43], 0 offset:120 ; 4-byte Folded Reload
	v_add_f16_e32 v86, v99, v86
	s_waitcnt vmcnt(0)
	v_add_f16_e32 v99, v120, v29
	buffer_load_dword v29, off, s[40:43], 0 offset:124 ; 4-byte Folded Reload
	v_add_f16_e32 v86, v99, v86
	s_waitcnt vmcnt(0)
	v_add_f16_e32 v99, v129, v29
	buffer_load_dword v29, off, s[40:43], 0 offset:132 ; 4-byte Folded Reload
	v_add_f16_e32 v86, v99, v86
	s_waitcnt vmcnt(0)
	v_add_f16_e32 v99, v136, v29
	buffer_load_dword v29, off, s[40:43], 0 offset:140 ; 4-byte Folded Reload
	v_add_f16_e32 v86, v99, v86
	s_waitcnt vmcnt(0)
	v_add_f16_e32 v99, v142, v29
	buffer_load_dword v29, off, s[40:43], 0 offset:60 ; 4-byte Folded Reload
	v_add_f16_e32 v86, v99, v86
	v_add_f16_e32 v99, v149, v206
	;; [unrolled: 1-line block ×3, first 2 shown]
	s_waitcnt vmcnt(0)
	v_sub_f16_e32 v96, v29, v96
	buffer_load_dword v29, off, s[40:43], 0 offset:68 ; 4-byte Folded Reload
	v_add_f16_e32 v96, v16, v96
	s_waitcnt vmcnt(0)
	v_sub_f16_e32 v97, v29, v97
	buffer_load_dword v29, off, s[40:43], 0 offset:76 ; 4-byte Folded Reload
	v_add_f16_e32 v96, v97, v96
	;; [unrolled: 4-line block ×8, first 2 shown]
	s_waitcnt vmcnt(0)
	v_add_f16_e32 v93, v93, v29
	buffer_load_dword v29, off, s[40:43], 0 offset:32 ; 4-byte Folded Reload
	v_add_f16_e32 v93, v43, v93
	v_add_f16_e32 v43, v43, v61
	;; [unrolled: 1-line block ×15, first 2 shown]
	v_lshrrev_b32_e32 v18, 1, v76
	v_add_f16_e32 v17, v17, v27
	v_mul_u32_u24_e32 v18, 34, v18
	v_and_b32_e32 v19, 1, v76
	v_add_f16_e32 v17, v17, v60
	v_or_b32_e32 v18, v18, v19
	v_lshl_add_u32 v18, v18, 2, v79
	s_waitcnt vmcnt(0)
	v_add_f16_e32 v94, v94, v29
	buffer_load_dword v29, off, s[40:43], 0 offset:40 ; 4-byte Folded Reload
	v_add_f16_e32 v93, v94, v93
	s_waitcnt vmcnt(0)
	v_add_f16_e32 v94, v98, v29
	buffer_load_dword v29, off, s[40:43], 0 offset:52 ; 4-byte Folded Reload
	v_add_f16_e32 v93, v94, v93
	s_waitcnt vmcnt(0)
	v_add_f16_e32 v94, v108, v29
	buffer_load_dword v29, off, s[40:43], 0 offset:56 ; 4-byte Folded Reload
	v_add_f16_e32 v93, v94, v93
	s_waitcnt vmcnt(0)
	v_add_f16_e32 v94, v117, v29
	buffer_load_dword v29, off, s[40:43], 0 offset:64 ; 4-byte Folded Reload
	v_add_f16_e32 v93, v94, v93
	s_waitcnt vmcnt(0)
	v_add_f16_e32 v94, v124, v29
	buffer_load_dword v29, off, s[40:43], 0 offset:72 ; 4-byte Folded Reload
	v_add_f16_e32 v93, v94, v93
	s_waitcnt vmcnt(0)
	v_add_f16_e32 v94, v132, v29
	buffer_load_dword v29, off, s[40:43], 0 offset:80 ; 4-byte Folded Reload
	v_add_f16_e32 v93, v94, v93
	s_waitcnt vmcnt(0)
	v_add_f16_e32 v94, v139, v29
	buffer_load_dword v29, off, s[40:43], 0 ; 4-byte Folded Reload
	v_add_f16_e32 v93, v94, v93
	s_waitcnt vmcnt(0)
	v_sub_f16_e32 v91, v29, v91
	buffer_load_dword v29, off, s[40:43], 0 offset:8 ; 4-byte Folded Reload
	v_add_f16_e32 v91, v16, v91
	v_add_f16_e32 v16, v16, v90
	;; [unrolled: 1-line block ×17, first 2 shown]
	v_pack_b32_f16 v16, v16, v17
	s_waitcnt vmcnt(0)
	v_sub_f16_e32 v92, v29, v92
	buffer_load_dword v29, off, s[40:43], 0 offset:12 ; 4-byte Folded Reload
	v_add_f16_e32 v91, v92, v91
	s_waitcnt vmcnt(0)
	v_sub_f16_e32 v92, v29, v95
	buffer_load_dword v29, off, s[40:43], 0 offset:16 ; 4-byte Folded Reload
	v_add_f16_e32 v91, v92, v91
	;; [unrolled: 4-line block ×6, first 2 shown]
	s_waitcnt vmcnt(0)
	v_sub_f16_e32 v92, v29, v133
	v_add_f16_e32 v91, v92, v91
	v_pack_b32_f16 v17, v91, v93
	ds_write2_b32 v18, v16, v17 offset1:2
	v_pack_b32_f16 v16, v96, v86
	v_pack_b32_f16 v17, v85, v84
	ds_write2_b32 v18, v16, v17 offset0:4 offset1:6
	v_pack_b32_f16 v16, v83, v82
	v_pack_b32_f16 v17, v81, v80
	ds_write2_b32 v18, v16, v17 offset0:8 offset1:10
	;; [unrolled: 3-line block ×5, first 2 shown]
	buffer_load_dword v16, off, s[40:43], 0 offset:96 ; 4-byte Folded Reload
	buffer_load_dword v17, off, s[40:43], 0 offset:4 ; 4-byte Folded Reload
	buffer_load_dword v19, off, s[40:43], 0 offset:44 ; 4-byte Folded Reload
	v_mov_b32_e32 v181, v159
	s_waitcnt vmcnt(2)
	v_pack_b32_f16 v16, v246, v16
	s_waitcnt vmcnt(0)
	v_pack_b32_f16 v17, v19, v17
	ds_write2_b32 v18, v16, v17 offset0:24 offset1:26
	v_perm_b32 v16, v34, v33, s14
	v_perm_b32 v17, v62, v59, s14
	ds_write2_b32 v18, v16, v17 offset0:28 offset1:30
	v_perm_b32 v16, v107, v105, s14
	ds_write_b32 v18, v16 offset:128
.LBB0_11:
	s_or_b64 exec, exec, s[2:3]
	v_add_u32_e32 v18, 0x400, v63
	v_add_u32_e32 v19, 0x800, v63
	s_waitcnt lgkmcnt(0)
	s_barrier
	ds_read2_b32 v[20:21], v63 offset1:68
	ds_read2_b32 v[16:17], v18 offset0:152 offset1:254
	ds_read2_b32 v[31:32], v19 offset0:66 offset1:134
	;; [unrolled: 1-line block ×3, first 2 shown]
	v_add_u32_e32 v19, 0xa00, v63
	v_add_u32_e32 v24, 0xc00, v63
	ds_read2_b32 v[26:27], v19 offset0:74 offset1:142
	ds_read2_b32 v[18:19], v18 offset0:16 offset1:84
	;; [unrolled: 1-line block ×3, first 2 shown]
	v_lshlrev_b32_e32 v43, 1, v76
	s_and_saveexec_b64 s[2:3], s[0:1]
	s_cbranch_execz .LBB0_13
; %bb.12:
	ds_read_b32 v33, v63 offset:1904
	ds_read_b32 v59, v63 offset:3944
	s_waitcnt lgkmcnt(1)
	v_lshrrev_b32_e32 v34, 16, v33
	s_waitcnt lgkmcnt(0)
	v_lshrrev_b32_e32 v62, 16, v59
.LBB0_13:
	s_or_b64 exec, exec, s[2:3]
	s_movk_i32 s2, 0xffde
	v_add_co_u32_e64 v28, s[2:3], s2, v76
	v_addc_co_u32_e64 v29, s[2:3], 0, -1, s[2:3]
	v_cndmask_b32_e64 v51, v29, 0, s[0:1]
	v_cndmask_b32_e64 v50, v28, v76, s[0:1]
	v_lshlrev_b64 v[44:45], 2, v[50:51]
	v_mov_b32_e32 v28, s5
	v_add_co_u32_e64 v51, s[2:3], s4, v44
	v_addc_co_u32_e64 v52, s[2:3], v28, v45, s[2:3]
	s_movk_i32 s2, 0xf1
	v_mul_lo_u16_sdwa v45, v40, s2 dst_sel:DWORD dst_unused:UNUSED_PAD src0_sel:BYTE_0 src1_sel:DWORD
	v_mul_lo_u16_sdwa v28, v41, s2 dst_sel:DWORD dst_unused:UNUSED_PAD src0_sel:BYTE_0 src1_sel:DWORD
	v_lshrrev_b16_e32 v47, 13, v45
	v_lshrrev_b16_e32 v28, 13, v28
	v_mul_lo_u16_e32 v45, 34, v47
	s_mov_b32 s2, 0xf0f1
	v_mul_lo_u16_e32 v29, 34, v28
	v_sub_u16_e32 v48, v40, v45
	v_mul_u32_u24_sdwa v45, v35, s2 dst_sel:DWORD dst_unused:UNUSED_PAD src0_sel:WORD_0 src1_sel:DWORD
	global_load_dword v90, v[51:52], off offset:128
	v_mul_u32_u24_sdwa v52, v42, s2 dst_sel:DWORD dst_unused:UNUSED_PAD src0_sel:WORD_0 src1_sel:DWORD
	v_sub_u16_e32 v29, v41, v29
	v_mov_b32_e32 v44, 2
	v_lshrrev_b32_e32 v54, 21, v45
	v_lshrrev_b32_e32 v52, 21, v52
	v_lshlrev_b32_sdwa v46, v44, v29 dst_sel:DWORD dst_unused:UNUSED_PAD src0_sel:DWORD src1_sel:BYTE_0
	v_lshlrev_b32_sdwa v49, v44, v48 dst_sel:DWORD dst_unused:UNUSED_PAD src0_sel:DWORD src1_sel:BYTE_0
	v_mul_lo_u16_e32 v44, 34, v54
	v_mul_lo_u16_e32 v53, 34, v52
	v_sub_u16_e32 v55, v35, v44
	v_sub_u16_e32 v42, v42, v53
	v_lshlrev_b32_e32 v51, 2, v55
	v_mul_u32_u24_sdwa v44, v37, s2 dst_sel:DWORD dst_unused:UNUSED_PAD src0_sel:WORD_0 src1_sel:DWORD
	v_lshlrev_b32_e32 v53, 2, v42
	global_load_dword v88, v46, s[4:5] offset:128
	global_load_dword v91, v49, s[4:5] offset:128
	;; [unrolled: 1-line block ×4, first 2 shown]
	v_lshrrev_b32_e32 v46, 21, v44
	v_mul_lo_u16_e32 v49, 34, v46
	v_sub_u16_e32 v49, v37, v49
	v_mul_u32_u24_sdwa v56, v38, s2 dst_sel:DWORD dst_unused:UNUSED_PAD src0_sel:WORD_0 src1_sel:DWORD
	v_lshlrev_b32_e32 v51, 2, v49
	v_lshrrev_b32_e32 v56, 21, v56
	global_load_dword v92, v51, s[4:5] offset:128
	v_mul_lo_u16_e32 v51, 34, v56
	v_sub_u16_e32 v38, v38, v51
	v_mul_u32_u24_sdwa v53, v36, s2 dst_sel:DWORD dst_unused:UNUSED_PAD src0_sel:WORD_0 src1_sel:DWORD
	v_lshlrev_b32_e32 v51, 2, v38
	v_lshrrev_b32_e32 v53, 21, v53
	global_load_dword v94, v51, s[4:5] offset:128
	v_mul_lo_u16_e32 v51, 34, v53
	v_sub_u16_e32 v36, v36, v51
	v_lshlrev_b32_e32 v51, 2, v36
	global_load_dword v87, v51, s[4:5] offset:128
	s_waitcnt lgkmcnt(5)
	v_lshrrev_b32_e32 v53, 16, v17
	s_waitcnt lgkmcnt(2)
	v_lshrrev_b32_e32 v82, 16, v27
	;; [unrolled: 2-line block ×3, first 2 shown]
	v_lshrrev_b32_e32 v86, 16, v25
	v_lshrrev_b32_e32 v51, 16, v20
	v_cmp_lt_u16_e64 s[2:3], 33, v76
	v_lshrrev_b32_e32 v58, 16, v31
	v_lshrrev_b32_e32 v57, 16, v21
	;; [unrolled: 1-line block ×3, first 2 shown]
	s_waitcnt vmcnt(0)
	s_barrier
	v_lshrrev_b32_e32 v60, 16, v22
	v_lshrrev_b32_e32 v80, 16, v26
	v_lshrrev_b32_e32 v64, 16, v23
	s_movk_i32 s14, 0x44
	v_lshrrev_b32_e32 v81, 16, v18
	v_lshrrev_b32_e32 v83, 16, v19
	;; [unrolled: 1-line block ×3, first 2 shown]
	v_lshl_add_u32 v176, v36, 2, v79
	v_mul_f16_sdwa v95, v53, v90 dst_sel:DWORD dst_unused:UNUSED_PAD src0_sel:DWORD src1_sel:WORD_1
	v_mul_f16_sdwa v96, v17, v90 dst_sel:DWORD dst_unused:UNUSED_PAD src0_sel:DWORD src1_sel:WORD_1
	v_fma_f16 v17, v17, v90, -v95
	v_fma_f16 v53, v53, v90, v96
	v_sub_f16_e32 v17, v20, v17
	v_fma_f16 v20, v20, 2.0, -v17
	v_mul_f16_sdwa v97, v58, v88 dst_sel:DWORD dst_unused:UNUSED_PAD src0_sel:DWORD src1_sel:WORD_1
	v_mul_f16_sdwa v98, v31, v88 dst_sel:DWORD dst_unused:UNUSED_PAD src0_sel:DWORD src1_sel:WORD_1
	v_fma_f16 v31, v31, v88, -v97
	v_fma_f16 v58, v58, v88, v98
	v_sub_f16_e32 v31, v21, v31
	v_sub_f16_e32 v58, v57, v58
	v_mul_f16_sdwa v99, v61, v91 dst_sel:DWORD dst_unused:UNUSED_PAD src0_sel:DWORD src1_sel:WORD_1
	v_mul_f16_sdwa v100, v32, v91 dst_sel:DWORD dst_unused:UNUSED_PAD src0_sel:DWORD src1_sel:WORD_1
	v_fma_f16 v21, v21, 2.0, -v31
	v_fma_f16 v57, v57, 2.0, -v58
	v_mul_f16_sdwa v95, v82, v92 dst_sel:DWORD dst_unused:UNUSED_PAD src0_sel:DWORD src1_sel:WORD_1
	v_fma_f16 v95, v27, v92, -v95
	v_mul_f16_sdwa v27, v27, v92 dst_sel:DWORD dst_unused:UNUSED_PAD src0_sel:DWORD src1_sel:WORD_1
	v_fma_f16 v27, v82, v92, v27
	v_mul_f16_sdwa v82, v84, v93 dst_sel:DWORD dst_unused:UNUSED_PAD src0_sel:DWORD src1_sel:WORD_1
	v_fma_f16 v82, v24, v93, -v82
	v_mul_f16_sdwa v24, v24, v93 dst_sel:DWORD dst_unused:UNUSED_PAD src0_sel:DWORD src1_sel:WORD_1
	v_fma_f16 v24, v84, v93, v24
	;; [unrolled: 4-line block ×4, first 2 shown]
	v_sub_f16_e32 v62, v51, v53
	v_sub_f16_e32 v53, v34, v59
	v_mov_b32_e32 v59, 0x44
	v_cndmask_b32_e64 v59, 0, v59, s[2:3]
	v_fma_f16 v96, v51, 2.0, -v62
	v_add_u32_e32 v50, v50, v59
	v_lshl_add_u32 v173, v50, 2, v79
	v_pack_b32_f16 v20, v20, v96
	v_pack_b32_f16 v17, v17, v62
	ds_write2_b32 v173, v20, v17 offset1:34
	v_mul_u32_u24_e32 v17, 0x44, v28
	v_add_u32_sdwa v17, v17, v29 dst_sel:DWORD dst_unused:UNUSED_PAD src0_sel:DWORD src1_sel:BYTE_0
	v_fma_f16 v32, v32, v91, -v99
	v_fma_f16 v61, v61, v91, v100
	v_lshl_add_u32 v172, v17, 2, v79
	v_pack_b32_f16 v17, v21, v57
	v_pack_b32_f16 v20, v31, v58
	v_mul_f16_sdwa v101, v80, v89 dst_sel:DWORD dst_unused:UNUSED_PAD src0_sel:DWORD src1_sel:WORD_1
	v_mul_f16_sdwa v102, v26, v89 dst_sel:DWORD dst_unused:UNUSED_PAD src0_sel:DWORD src1_sel:WORD_1
	v_sub_f16_e32 v32, v22, v32
	v_sub_f16_e32 v61, v60, v61
	ds_write2_b32 v172, v17, v20 offset1:34
	v_mul_u32_u24_e32 v17, 0x44, v47
	v_fma_f16 v26, v26, v89, -v101
	v_fma_f16 v80, v80, v89, v102
	v_fma_f16 v22, v22, 2.0, -v32
	v_fma_f16 v60, v60, 2.0, -v61
	v_add_u32_sdwa v17, v17, v48 dst_sel:DWORD dst_unused:UNUSED_PAD src0_sel:DWORD src1_sel:BYTE_0
	v_sub_f16_e32 v26, v23, v26
	v_sub_f16_e32 v80, v64, v80
	v_lshl_add_u32 v169, v17, 2, v79
	v_pack_b32_f16 v17, v22, v60
	v_pack_b32_f16 v20, v32, v61
	v_fma_f16 v23, v23, 2.0, -v26
	v_fma_f16 v64, v64, 2.0, -v80
	ds_write2_b32 v169, v17, v20 offset1:34
	v_mad_legacy_u16 v17, v54, s14, v55
	v_sub_f16_e32 v101, v18, v95
	v_sub_f16_e32 v27, v81, v27
	v_lshl_add_u32 v168, v17, 2, v79
	v_pack_b32_f16 v17, v23, v64
	v_pack_b32_f16 v20, v26, v80
	v_fma_f16 v18, v18, 2.0, -v101
	v_fma_f16 v81, v81, 2.0, -v27
	ds_write2_b32 v168, v17, v20 offset1:34
	v_mad_legacy_u16 v17, v46, s14, v49
	;; [unrolled: 9-line block ×4, first 2 shown]
	v_sub_f16_e32 v51, v33, v86
	v_lshl_add_u32 v187, v17, 2, v79
	v_pack_b32_f16 v16, v16, v85
	v_pack_b32_f16 v17, v84, v25
	ds_write2_b32 v187, v16, v17 offset1:34
	s_and_saveexec_b64 s[2:3], s[0:1]
	s_cbranch_execz .LBB0_15
; %bb.14:
	v_fma_f16 v16, v33, 2.0, -v51
	v_fma_f16 v17, v34, 2.0, -v53
	s_mov_b32 s14, 0x5040100
	v_pack_b32_f16 v16, v16, v17
	v_perm_b32 v17, v53, v51, s14
	v_add_u32_e32 v18, 0xc00, v176
	ds_write2_b32 v18, v16, v17 offset0:184 offset1:218
.LBB0_15:
	s_or_b64 exec, exec, s[2:3]
	v_lshlrev_b32_e32 v16, 2, v43
	s_movk_i32 s2, 0x79
	s_waitcnt lgkmcnt(0)
	s_barrier
	global_load_dwordx2 v[31:32], v16, s[4:5] offset:264
	v_mul_lo_u16_sdwa v16, v40, s2 dst_sel:DWORD dst_unused:UNUSED_PAD src0_sel:BYTE_0 src1_sel:DWORD
	v_lshrrev_b16_e32 v16, 13, v16
	v_mul_lo_u16_e32 v16, 0x44, v16
	v_sub_u16_e32 v16, v40, v16
	v_and_b32_e32 v28, 0xff, v16
	v_lshlrev_b32_e32 v16, 3, v28
	global_load_dwordx2 v[33:34], v16, s[4:5] offset:264
	v_lshrrev_b32_e32 v16, 22, v45
	v_mul_lo_u16_e32 v16, 0x44, v16
	v_sub_u16_e32 v29, v35, v16
	v_lshlrev_b16_e32 v16, 3, v29
	v_mov_b32_e32 v18, s5
	v_add_co_u32_e64 v16, s[2:3], s4, v16
	v_addc_co_u32_e64 v17, s[2:3], 0, v18, s[2:3]
	global_load_dwordx2 v[35:36], v[16:17], off offset:264
	v_lshrrev_b32_e32 v16, 22, v44
	v_mul_lo_u16_e32 v16, 0x44, v16
	v_sub_u16_e32 v45, v37, v16
	v_lshlrev_b16_e32 v16, 3, v45
	v_add_co_u32_e64 v16, s[2:3], s4, v16
	v_addc_co_u32_e64 v17, s[2:3], 0, v18, s[2:3]
	global_load_dwordx2 v[37:38], v[16:17], off offset:264
	ds_read2_b32 v[16:17], v63 offset1:68
	v_add_u32_e32 v48, 0x400, v63
	v_add_u32_e32 v42, 0x800, v63
	ds_read2_b32 v[18:19], v63 offset0:136 offset1:204
	v_add_u32_e32 v50, 0xc00, v63
	ds_read_b32 v46, v63 offset:3808
	ds_read2_b32 v[20:21], v48 offset0:16 offset1:84
	ds_read2_b32 v[22:23], v42 offset0:168 offset1:236
	;; [unrolled: 1-line block ×5, first 2 shown]
	s_waitcnt lgkmcnt(4)
	v_lshrrev_b32_e32 v56, 16, v21
	s_waitcnt lgkmcnt(3)
	v_lshrrev_b32_e32 v57, 16, v22
	;; [unrolled: 2-line block ×3, first 2 shown]
	v_lshrrev_b32_e32 v55, 16, v46
	s_waitcnt lgkmcnt(0)
	v_lshrrev_b32_e32 v81, 16, v44
	v_lshrrev_b32_e32 v58, 16, v24
	v_lshrrev_b32_e32 v59, 16, v23
	v_lshrrev_b32_e32 v61, 16, v26
	v_lshrrev_b32_e32 v47, 16, v16
	s_movk_i32 s2, 0x3aee
	s_mov_b32 s3, 0xbaee
	v_lshrrev_b32_e32 v49, 16, v17
	v_lshrrev_b32_e32 v62, 16, v43
	;; [unrolled: 1-line block ×6, first 2 shown]
	s_waitcnt vmcnt(0)
	s_barrier
	v_lshl_add_u32 v192, v28, 2, v79
	s_mov_b32 s14, 0xb8b4
	v_mul_f16_sdwa v82, v56, v31 dst_sel:DWORD dst_unused:UNUSED_PAD src0_sel:DWORD src1_sel:WORD_1
	v_mul_f16_sdwa v83, v21, v31 dst_sel:DWORD dst_unused:UNUSED_PAD src0_sel:DWORD src1_sel:WORD_1
	v_fma_f16 v21, v21, v31, -v82
	v_fma_f16 v56, v56, v31, v83
	v_mul_f16_sdwa v84, v57, v32 dst_sel:DWORD dst_unused:UNUSED_PAD src0_sel:DWORD src1_sel:WORD_1
	v_mul_f16_sdwa v85, v22, v32 dst_sel:DWORD dst_unused:UNUSED_PAD src0_sel:DWORD src1_sel:WORD_1
	v_fma_f16 v22, v22, v32, -v84
	v_mul_f16_sdwa v82, v60, v33 dst_sel:DWORD dst_unused:UNUSED_PAD src0_sel:DWORD src1_sel:WORD_1
	v_mul_f16_sdwa v83, v25, v33 dst_sel:DWORD dst_unused:UNUSED_PAD src0_sel:DWORD src1_sel:WORD_1
	v_fma_f16 v25, v25, v33, -v82
	v_fma_f16 v57, v57, v32, v85
	v_fma_f16 v60, v60, v33, v83
	v_add_f16_e32 v83, v21, v22
	v_mul_f16_sdwa v86, v58, v31 dst_sel:DWORD dst_unused:UNUSED_PAD src0_sel:DWORD src1_sel:WORD_1
	v_mul_f16_sdwa v104, v59, v32 dst_sel:DWORD dst_unused:UNUSED_PAD src0_sel:DWORD src1_sel:WORD_1
	;; [unrolled: 1-line block ×5, first 2 shown]
	v_fma_f16 v24, v24, v31, -v86
	v_fma_f16 v23, v23, v32, -v104
	v_mul_f16_sdwa v85, v26, v34 dst_sel:DWORD dst_unused:UNUSED_PAD src0_sel:DWORD src1_sel:WORD_1
	v_fma_f16 v26, v26, v34, -v84
	v_fma_f16 v58, v58, v31, v103
	v_fma_f16 v59, v59, v32, v106
	;; [unrolled: 1-line block ×3, first 2 shown]
	v_mul_f16_sdwa v86, v62, v35 dst_sel:DWORD dst_unused:UNUSED_PAD src0_sel:DWORD src1_sel:WORD_1
	v_mul_f16_sdwa v82, v81, v37 dst_sel:DWORD dst_unused:UNUSED_PAD src0_sel:DWORD src1_sel:WORD_1
	v_fma_f16 v82, v44, v37, -v82
	v_mul_f16_sdwa v44, v44, v37 dst_sel:DWORD dst_unused:UNUSED_PAD src0_sel:DWORD src1_sel:WORD_1
	v_fma_f16 v44, v81, v37, v44
	v_mul_f16_sdwa v81, v55, v38 dst_sel:DWORD dst_unused:UNUSED_PAD src0_sel:DWORD src1_sel:WORD_1
	v_fma_f16 v81, v46, v38, -v81
	v_mul_f16_sdwa v46, v46, v38 dst_sel:DWORD dst_unused:UNUSED_PAD src0_sel:DWORD src1_sel:WORD_1
	v_fma_f16 v46, v55, v38, v46
	v_add_f16_e32 v55, v16, v21
	v_fma_f16 v16, v83, -0.5, v16
	v_sub_f16_e32 v83, v56, v57
	v_fma_f16 v84, v83, s2, v16
	v_fma_f16 v16, v83, s3, v16
	v_add_f16_e32 v83, v47, v56
	v_add_f16_e32 v56, v56, v57
	v_fma_f16 v47, v56, -0.5, v47
	v_sub_f16_e32 v21, v21, v22
	v_add_f16_e32 v56, v24, v23
	v_add_f16_e32 v55, v55, v22
	v_fma_f16 v22, v21, s3, v47
	v_fma_f16 v21, v21, s2, v47
	v_add_f16_e32 v47, v17, v24
	v_fma_f16 v17, v56, -0.5, v17
	v_sub_f16_e32 v56, v58, v59
	v_add_f16_e32 v83, v83, v57
	v_fma_f16 v57, v56, s2, v17
	v_fma_f16 v17, v56, s3, v17
	v_add_f16_e32 v56, v49, v58
	v_add_f16_e32 v58, v58, v59
	;; [unrolled: 1-line block ×3, first 2 shown]
	v_fma_f16 v49, v58, -0.5, v49
	v_sub_f16_e32 v23, v24, v23
	v_add_f16_e32 v58, v25, v26
	v_mul_f16_sdwa v104, v64, v36 dst_sel:DWORD dst_unused:UNUSED_PAD src0_sel:DWORD src1_sel:WORD_1
	v_fma_f16 v24, v23, s3, v49
	v_fma_f16 v23, v23, s2, v49
	v_add_f16_e32 v49, v18, v25
	v_fma_f16 v18, v58, -0.5, v18
	v_sub_f16_e32 v58, v60, v61
	v_mul_f16_sdwa v103, v43, v35 dst_sel:DWORD dst_unused:UNUSED_PAD src0_sel:DWORD src1_sel:WORD_1
	v_mul_f16_sdwa v106, v27, v36 dst_sel:DWORD dst_unused:UNUSED_PAD src0_sel:DWORD src1_sel:WORD_1
	v_fma_f16 v43, v43, v35, -v86
	v_fma_f16 v27, v27, v36, -v104
	v_add_f16_e32 v56, v56, v59
	v_fma_f16 v59, v58, s2, v18
	v_fma_f16 v18, v58, s3, v18
	v_add_f16_e32 v58, v52, v60
	v_add_f16_e32 v60, v60, v61
	v_fma_f16 v62, v62, v35, v103
	v_fma_f16 v64, v64, v36, v106
	v_fma_f16 v52, v60, -0.5, v52
	v_sub_f16_e32 v25, v25, v26
	v_add_f16_e32 v60, v43, v27
	v_add_f16_e32 v49, v49, v26
	v_fma_f16 v26, v25, s3, v52
	v_fma_f16 v25, v25, s2, v52
	v_add_f16_e32 v52, v19, v43
	v_fma_f16 v19, v60, -0.5, v19
	v_sub_f16_e32 v60, v62, v64
	v_add_f16_e32 v58, v58, v61
	v_fma_f16 v61, v60, s2, v19
	v_fma_f16 v19, v60, s3, v19
	v_add_f16_e32 v60, v54, v62
	v_add_f16_e32 v62, v62, v64
	;; [unrolled: 1-line block ×3, first 2 shown]
	v_fma_f16 v54, v62, -0.5, v54
	v_sub_f16_e32 v27, v43, v27
	v_add_f16_e32 v62, v82, v81
	v_fma_f16 v43, v27, s3, v54
	v_fma_f16 v27, v27, s2, v54
	v_add_f16_e32 v54, v20, v82
	v_fma_f16 v20, v62, -0.5, v20
	v_sub_f16_e32 v62, v44, v46
	v_add_f16_e32 v60, v60, v64
	v_fma_f16 v64, v62, s2, v20
	v_fma_f16 v20, v62, s3, v20
	v_add_f16_e32 v62, v80, v44
	v_add_f16_e32 v44, v44, v46
	v_pack_b32_f16 v16, v16, v21
	v_pack_b32_f16 v21, v47, v56
	v_add_f16_e32 v62, v62, v46
	v_fma_f16 v44, v44, -0.5, v80
	v_sub_f16_e32 v46, v82, v81
	ds_write2_b32 v63, v16, v21 offset0:136 offset1:204
	v_pack_b32_f16 v16, v57, v24
	v_pack_b32_f16 v17, v17, v23
	v_fma_f16 v80, v46, s3, v44
	v_fma_f16 v44, v46, s2, v44
	v_pack_b32_f16 v46, v55, v83
	v_pack_b32_f16 v22, v84, v22
	ds_write2_b32 v48, v16, v17 offset0:16 offset1:84
	v_pack_b32_f16 v16, v49, v58
	v_pack_b32_f16 v17, v59, v26
	v_add_u32_e32 v21, 0x400, v192
	ds_write2_b32 v63, v46, v22 offset1:68
	ds_write2_b32 v21, v16, v17 offset0:152 offset1:220
	v_pack_b32_f16 v16, v18, v25
	v_lshl_add_u32 v104, v29, 2, v79
	ds_write_b32 v192, v16 offset:2176
	v_pack_b32_f16 v16, v52, v60
	v_pack_b32_f16 v17, v61, v43
	v_add_u32_e32 v18, 0x800, v104
	v_add_f16_e32 v54, v54, v81
	ds_write2_b32 v18, v16, v17 offset0:100 offset1:168
	v_pack_b32_f16 v16, v19, v27
	v_lshl_add_u32 v106, v45, 2, v79
	ds_write_b32 v104, v16 offset:2992
	v_pack_b32_f16 v16, v54, v62
	v_pack_b32_f16 v17, v64, v80
	v_add_u32_e32 v18, 0xc00, v106
	ds_write2_b32 v18, v16, v17 offset0:48 offset1:116
	v_pack_b32_f16 v16, v20, v44
	ds_write_b32 v106, v16 offset:3808
	v_lshlrev_b32_e32 v16, 4, v76
	s_waitcnt lgkmcnt(0)
	s_barrier
	global_load_dwordx4 v[16:19], v16, s[4:5] offset:808
	v_lshlrev_b32_e32 v20, 4, v41
	global_load_dwordx4 v[20:23], v20, s[4:5] offset:808
	v_lshlrev_b32_e32 v24, 4, v40
	global_load_dwordx4 v[24:27], v24, s[4:5] offset:808
	ds_read2_b32 v[40:41], v63 offset1:68
	ds_read2_b32 v[43:44], v63 offset0:136 offset1:204
	ds_read2_b32 v[45:46], v48 offset0:152 offset1:220
	;; [unrolled: 1-line block ×5, first 2 shown]
	s_waitcnt lgkmcnt(4)
	v_lshrrev_b32_e32 v29, 16, v44
	s_waitcnt lgkmcnt(3)
	v_lshrrev_b32_e32 v47, 16, v45
	;; [unrolled: 2-line block ×4, first 2 shown]
	ds_read2_b32 v[60:61], v42 offset0:168 offset1:236
	s_waitcnt lgkmcnt(1)
	v_lshrrev_b32_e32 v64, 16, v58
	v_lshrrev_b32_e32 v80, 16, v46
	;; [unrolled: 1-line block ×4, first 2 shown]
	s_waitcnt lgkmcnt(0)
	v_lshrrev_b32_e32 v81, 16, v60
	ds_read_b32 v83, v63 offset:3808
	v_lshrrev_b32_e32 v86, 16, v54
	v_lshrrev_b32_e32 v108, 16, v61
	s_movk_i32 s2, 0x3b9c
	s_mov_b32 s5, 0xbb9c
	s_waitcnt lgkmcnt(0)
	v_lshrrev_b32_e32 v109, 16, v83
	s_movk_i32 s3, 0x38b4
	s_movk_i32 s4, 0x34f2
	v_lshrrev_b32_e32 v28, 16, v40
	v_lshrrev_b32_e32 v62, 16, v41
	;; [unrolled: 1-line block ×3, first 2 shown]
	s_waitcnt vmcnt(2)
	v_mul_f16_sdwa v110, v29, v16 dst_sel:DWORD dst_unused:UNUSED_PAD src0_sel:DWORD src1_sel:WORD_1
	v_fma_f16 v110, v44, v16, -v110
	v_mul_f16_sdwa v44, v44, v16 dst_sel:DWORD dst_unused:UNUSED_PAD src0_sel:DWORD src1_sel:WORD_1
	v_fma_f16 v29, v29, v16, v44
	v_mul_f16_sdwa v44, v47, v17 dst_sel:DWORD dst_unused:UNUSED_PAD src0_sel:DWORD src1_sel:WORD_1
	v_fma_f16 v44, v45, v17, -v44
	v_mul_f16_sdwa v45, v45, v17 dst_sel:DWORD dst_unused:UNUSED_PAD src0_sel:DWORD src1_sel:WORD_1
	v_fma_f16 v45, v47, v17, v45
	v_mul_f16_sdwa v47, v49, v18 dst_sel:DWORD dst_unused:UNUSED_PAD src0_sel:DWORD src1_sel:WORD_1
	v_fma_f16 v47, v55, v18, -v47
	v_mul_f16_sdwa v55, v55, v18 dst_sel:DWORD dst_unused:UNUSED_PAD src0_sel:DWORD src1_sel:WORD_1
	v_fma_f16 v49, v49, v18, v55
	v_mul_f16_sdwa v55, v52, v19 dst_sel:DWORD dst_unused:UNUSED_PAD src0_sel:DWORD src1_sel:WORD_1
	v_fma_f16 v55, v56, v19, -v55
	v_mul_f16_sdwa v56, v56, v19 dst_sel:DWORD dst_unused:UNUSED_PAD src0_sel:DWORD src1_sel:WORD_1
	v_fma_f16 v52, v52, v19, v56
	s_waitcnt vmcnt(1)
	v_mul_f16_sdwa v56, v64, v20 dst_sel:DWORD dst_unused:UNUSED_PAD src0_sel:DWORD src1_sel:WORD_1
	v_fma_f16 v56, v58, v20, -v56
	v_mul_f16_sdwa v58, v58, v20 dst_sel:DWORD dst_unused:UNUSED_PAD src0_sel:DWORD src1_sel:WORD_1
	v_fma_f16 v58, v64, v20, v58
	v_mul_f16_sdwa v64, v80, v21 dst_sel:DWORD dst_unused:UNUSED_PAD src0_sel:DWORD src1_sel:WORD_1
	v_fma_f16 v64, v46, v21, -v64
	v_mul_f16_sdwa v46, v46, v21 dst_sel:DWORD dst_unused:UNUSED_PAD src0_sel:DWORD src1_sel:WORD_1
	v_fma_f16 v46, v80, v21, v46
	v_mul_f16_sdwa v80, v81, v22 dst_sel:DWORD dst_unused:UNUSED_PAD src0_sel:DWORD src1_sel:WORD_1
	v_fma_f16 v80, v60, v22, -v80
	v_mul_f16_sdwa v60, v60, v22 dst_sel:DWORD dst_unused:UNUSED_PAD src0_sel:DWORD src1_sel:WORD_1
	v_fma_f16 v60, v81, v22, v60
	v_mul_f16_sdwa v81, v82, v23 dst_sel:DWORD dst_unused:UNUSED_PAD src0_sel:DWORD src1_sel:WORD_1
	v_fma_f16 v81, v57, v23, -v81
	v_mul_f16_sdwa v57, v57, v23 dst_sel:DWORD dst_unused:UNUSED_PAD src0_sel:DWORD src1_sel:WORD_1
	v_fma_f16 v57, v82, v23, v57
	;; [unrolled: 17-line block ×3, first 2 shown]
	v_add_f16_e32 v109, v40, v110
	v_add_f16_e32 v109, v109, v44
	;; [unrolled: 1-line block ×5, first 2 shown]
	v_fma_f16 v109, v109, -0.5, v40
	v_sub_f16_e32 v112, v29, v52
	v_fma_f16 v113, v112, s2, v109
	v_sub_f16_e32 v114, v45, v49
	v_sub_f16_e32 v115, v110, v44
	;; [unrolled: 1-line block ×3, first 2 shown]
	v_fma_f16 v109, v112, s5, v109
	v_fma_f16 v113, v114, s3, v113
	v_add_f16_e32 v115, v115, v116
	v_fma_f16 v109, v114, s14, v109
	v_fma_f16 v113, v115, s4, v113
	;; [unrolled: 1-line block ×3, first 2 shown]
	v_add_f16_e32 v109, v110, v55
	v_fma_f16 v40, v109, -0.5, v40
	v_fma_f16 v109, v114, s5, v40
	v_sub_f16_e32 v116, v44, v110
	v_sub_f16_e32 v117, v47, v55
	v_fma_f16 v109, v112, s3, v109
	v_add_f16_e32 v116, v116, v117
	v_fma_f16 v117, v116, s4, v109
	v_add_f16_e32 v109, v28, v29
	v_add_f16_e32 v109, v109, v45
	v_fma_f16 v40, v114, s2, v40
	v_add_f16_e32 v109, v109, v49
	v_fma_f16 v40, v112, s14, v40
	v_add_f16_e32 v112, v109, v52
	v_add_f16_e32 v109, v45, v49
	v_fma_f16 v109, v109, -0.5, v28
	v_sub_f16_e32 v55, v110, v55
	v_fma_f16 v110, v55, s5, v109
	v_sub_f16_e32 v44, v44, v47
	v_fma_f16 v47, v44, s14, v110
	v_sub_f16_e32 v110, v29, v45
	v_sub_f16_e32 v114, v52, v49
	v_fma_f16 v109, v55, s2, v109
	v_add_f16_e32 v110, v110, v114
	v_fma_f16 v109, v44, s3, v109
	v_fma_f16 v114, v110, s4, v109
	v_add_f16_e32 v109, v29, v52
	v_fma_f16 v28, v109, -0.5, v28
	v_fma_f16 v109, v44, s2, v28
	v_sub_f16_e32 v29, v45, v29
	v_sub_f16_e32 v45, v49, v52
	v_fma_f16 v28, v44, s5, v28
	v_add_f16_e32 v44, v64, v80
	v_fma_f16 v109, v55, s14, v109
	v_add_f16_e32 v29, v29, v45
	v_fma_f16 v44, v44, -0.5, v41
	v_sub_f16_e32 v49, v58, v57
	v_fma_f16 v47, v110, s4, v47
	v_fma_f16 v45, v29, s4, v109
	;; [unrolled: 1-line block ×4, first 2 shown]
	v_sub_f16_e32 v55, v46, v60
	v_sub_f16_e32 v109, v56, v64
	;; [unrolled: 1-line block ×3, first 2 shown]
	v_fma_f16 v44, v49, s5, v44
	v_fma_f16 v52, v55, s3, v52
	v_add_f16_e32 v109, v109, v110
	v_fma_f16 v44, v55, s14, v44
	v_fma_f16 v52, v109, s4, v52
	;; [unrolled: 1-line block ×3, first 2 shown]
	v_add_f16_e32 v109, v56, v81
	v_fma_f16 v28, v29, s4, v28
	v_add_f16_e32 v29, v41, v56
	v_fma_f16 v41, v109, -0.5, v41
	v_add_f16_e32 v29, v29, v64
	v_fma_f16 v109, v55, s5, v41
	v_fma_f16 v41, v55, s2, v41
	v_add_f16_e32 v55, v46, v60
	v_fma_f16 v40, v116, s4, v40
	v_add_f16_e32 v29, v29, v80
	v_sub_f16_e32 v110, v64, v56
	v_sub_f16_e32 v116, v80, v81
	v_fma_f16 v55, v55, -0.5, v62
	v_sub_f16_e32 v56, v56, v81
	v_add_f16_e32 v29, v29, v81
	v_fma_f16 v109, v49, s3, v109
	v_add_f16_e32 v110, v110, v116
	v_fma_f16 v81, v56, s5, v55
	v_sub_f16_e32 v64, v64, v80
	v_fma_f16 v116, v110, s4, v109
	v_fma_f16 v80, v64, s14, v81
	v_sub_f16_e32 v81, v58, v46
	v_sub_f16_e32 v109, v57, v60
	v_fma_f16 v55, v56, s2, v55
	v_add_f16_e32 v81, v81, v109
	v_fma_f16 v55, v64, s3, v55
	v_fma_f16 v41, v49, s14, v41
	v_add_f16_e32 v49, v62, v58
	v_fma_f16 v80, v81, s4, v80
	v_fma_f16 v55, v81, s4, v55
	v_add_f16_e32 v81, v58, v57
	v_add_f16_e32 v49, v49, v46
	v_fma_f16 v62, v81, -0.5, v62
	v_add_f16_e32 v49, v49, v60
	v_fma_f16 v81, v64, s2, v62
	v_sub_f16_e32 v46, v46, v58
	v_fma_f16 v58, v64, s5, v62
	v_add_f16_e32 v49, v49, v57
	v_fma_f16 v81, v56, s14, v81
	v_sub_f16_e32 v57, v60, v57
	v_fma_f16 v56, v56, s3, v58
	v_add_f16_e32 v58, v85, v86
	v_add_f16_e32 v46, v46, v57
	v_fma_f16 v58, v58, -0.5, v43
	v_sub_f16_e32 v60, v59, v83
	v_fma_f16 v57, v46, s4, v81
	v_fma_f16 v62, v60, s2, v58
	v_sub_f16_e32 v64, v54, v61
	v_sub_f16_e32 v81, v82, v85
	;; [unrolled: 1-line block ×3, first 2 shown]
	v_fma_f16 v58, v60, s5, v58
	v_add_f16_e32 v81, v81, v109
	v_fma_f16 v58, v64, s14, v58
	v_fma_f16 v109, v81, s4, v58
	v_add_f16_e32 v58, v82, v108
	v_fma_f16 v46, v46, s4, v56
	v_add_f16_e32 v56, v43, v82
	v_fma_f16 v62, v64, s3, v62
	v_fma_f16 v43, v58, -0.5, v43
	v_fma_f16 v41, v110, s4, v41
	v_fma_f16 v62, v81, s4, v62
	v_fma_f16 v58, v64, s5, v43
	v_sub_f16_e32 v81, v85, v82
	v_sub_f16_e32 v110, v86, v108
	v_fma_f16 v43, v64, s2, v43
	v_add_f16_e32 v56, v56, v85
	v_fma_f16 v58, v60, s3, v58
	v_add_f16_e32 v81, v81, v110
	;; [unrolled: 2-line block ×3, first 2 shown]
	v_add_f16_e32 v56, v56, v86
	v_fma_f16 v58, v81, s4, v58
	v_fma_f16 v43, v81, s4, v43
	v_fma_f16 v64, v64, -0.5, v84
	v_sub_f16_e32 v81, v82, v108
	v_add_f16_e32 v56, v56, v108
	v_fma_f16 v82, v81, s5, v64
	v_sub_f16_e32 v85, v85, v86
	v_sub_f16_e32 v86, v59, v54
	;; [unrolled: 1-line block ×3, first 2 shown]
	v_fma_f16 v64, v81, s2, v64
	v_add_f16_e32 v86, v86, v108
	v_fma_f16 v64, v85, s3, v64
	v_add_f16_e32 v60, v84, v59
	;; [unrolled: 2-line block ×3, first 2 shown]
	v_add_f16_e32 v60, v60, v54
	v_fma_f16 v64, v64, -0.5, v84
	v_add_f16_e32 v60, v60, v61
	v_fma_f16 v84, v85, s2, v64
	v_sub_f16_e32 v54, v54, v59
	v_sub_f16_e32 v59, v61, v83
	v_fma_f16 v61, v85, s5, v64
	v_pack_b32_f16 v47, v113, v47
	v_pack_b32_f16 v45, v117, v45
	v_add_u32_e32 v64, 0x300, v63
	ds_write2_b32 v64, v47, v45 offset0:12 offset1:216
	v_lshl_add_u32 v64, v76, 2, v79
	v_add_f16_e32 v60, v60, v83
	v_fma_f16 v82, v85, s14, v82
	v_fma_f16 v84, v81, s14, v84
	v_add_f16_e32 v54, v54, v59
	v_fma_f16 v61, v81, s3, v61
	v_pack_b32_f16 v28, v40, v28
	v_pack_b32_f16 v40, v115, v114
	v_add_u32_e32 v45, 0x900, v64
	v_fma_f16 v82, v86, s4, v82
	v_fma_f16 v59, v54, s4, v84
	;; [unrolled: 1-line block ×3, first 2 shown]
	v_pack_b32_f16 v61, v111, v112
	ds_write2_b32 v45, v28, v40 offset0:36 offset1:240
	v_pack_b32_f16 v28, v29, v49
	v_pack_b32_f16 v40, v41, v46
	;; [unrolled: 1-line block ×4, first 2 shown]
	ds_write2_b32 v63, v61, v28 offset1:68
	v_pack_b32_f16 v28, v52, v80
	ds_write_b32 v63, v44 offset:544
	v_pack_b32_f16 v44, v62, v82
	v_pack_b32_f16 v29, v116, v57
	ds_write2_b32 v48, v28, v44 offset0:16 offset1:84
	v_pack_b32_f16 v28, v58, v59
	v_add_u32_e32 v44, 0x600, v63
	ds_write2_b32 v44, v29, v28 offset0:92 offset1:160
	v_pack_b32_f16 v28, v43, v54
	ds_write2_b32 v42, v40, v28 offset0:168 offset1:236
	v_pack_b32_f16 v28, v109, v110
	ds_write2_b32 v50, v41, v28 offset0:116 offset1:184
	s_waitcnt lgkmcnt(0)
	s_barrier
	global_load_dword v28, v[183:184], off offset:4080
	s_add_u32 s2, s12, 0xff0
	s_addc_u32 s3, s13, 0
	global_load_dword v29, v39, s[2:3] offset:2040
	global_load_dword v46, v39, s[2:3] offset:272
	;; [unrolled: 1-line block ×10, first 2 shown]
	ds_read2_b32 v[40:41], v63 offset1:68
	global_load_dword v60, v39, s[2:3] offset:1632
	global_load_dword v61, v39, s[2:3] offset:3400
	;; [unrolled: 1-line block ×3, first 2 shown]
	ds_read2_b32 v[43:44], v48 offset0:152 offset1:254
	s_waitcnt lgkmcnt(1)
	v_lshrrev_b32_e32 v45, 16, v40
	s_waitcnt vmcnt(13)
	v_mul_f16_sdwa v55, v45, v28 dst_sel:DWORD dst_unused:UNUSED_PAD src0_sel:DWORD src1_sel:WORD_1
	v_fma_f16 v55, v40, v28, -v55
	v_mul_f16_sdwa v40, v40, v28 dst_sel:DWORD dst_unused:UNUSED_PAD src0_sel:DWORD src1_sel:WORD_1
	v_fma_f16 v28, v45, v28, v40
	s_waitcnt lgkmcnt(0)
	v_lshrrev_b32_e32 v40, 16, v44
	s_waitcnt vmcnt(12)
	v_mul_f16_sdwa v45, v40, v29 dst_sel:DWORD dst_unused:UNUSED_PAD src0_sel:DWORD src1_sel:WORD_1
	v_fma_f16 v45, v44, v29, -v45
	v_mul_f16_sdwa v44, v44, v29 dst_sel:DWORD dst_unused:UNUSED_PAD src0_sel:DWORD src1_sel:WORD_1
	v_fma_f16 v29, v40, v29, v44
	v_lshrrev_b32_e32 v40, 16, v41
	s_waitcnt vmcnt(11)
	v_mul_f16_sdwa v44, v40, v46 dst_sel:DWORD dst_unused:UNUSED_PAD src0_sel:DWORD src1_sel:WORD_1
	v_pack_b32_f16 v28, v55, v28
	v_pack_b32_f16 v29, v45, v29
	v_fma_f16 v55, v41, v46, -v44
	ds_read2_b32 v[44:45], v42 offset0:66 offset1:134
	v_mul_f16_sdwa v41, v41, v46 dst_sel:DWORD dst_unused:UNUSED_PAD src0_sel:DWORD src1_sel:WORD_1
	v_fma_f16 v40, v40, v46, v41
	v_pack_b32_f16 v40, v55, v40
	ds_write2_b32 v63, v28, v40 offset1:68
	ds_read2_b32 v[40:41], v63 offset0:136 offset1:204
	s_waitcnt lgkmcnt(2)
	v_lshrrev_b32_e32 v28, 16, v44
	s_waitcnt vmcnt(10)
	v_mul_f16_sdwa v46, v28, v47 dst_sel:DWORD dst_unused:UNUSED_PAD src0_sel:DWORD src1_sel:WORD_1
	v_fma_f16 v46, v44, v47, -v46
	v_mul_f16_sdwa v44, v44, v47 dst_sel:DWORD dst_unused:UNUSED_PAD src0_sel:DWORD src1_sel:WORD_1
	v_fma_f16 v28, v28, v47, v44
	s_waitcnt lgkmcnt(0)
	v_lshrrev_b32_e32 v44, 16, v40
	v_pack_b32_f16 v28, v46, v28
	s_waitcnt vmcnt(9)
	v_mul_f16_sdwa v46, v44, v49 dst_sel:DWORD dst_unused:UNUSED_PAD src0_sel:DWORD src1_sel:WORD_1
	v_fma_f16 v46, v40, v49, -v46
	v_mul_f16_sdwa v40, v40, v49 dst_sel:DWORD dst_unused:UNUSED_PAD src0_sel:DWORD src1_sel:WORD_1
	v_fma_f16 v40, v44, v49, v40
	v_pack_b32_f16 v46, v46, v40
	v_lshrrev_b32_e32 v40, 16, v45
	s_waitcnt vmcnt(8)
	v_mul_f16_sdwa v44, v40, v52 dst_sel:DWORD dst_unused:UNUSED_PAD src0_sel:DWORD src1_sel:WORD_1
	v_fma_f16 v44, v45, v52, -v44
	v_mul_f16_sdwa v45, v45, v52 dst_sel:DWORD dst_unused:UNUSED_PAD src0_sel:DWORD src1_sel:WORD_1
	v_fma_f16 v40, v40, v52, v45
	v_pack_b32_f16 v40, v44, v40
	ds_write2_b32 v42, v28, v40 offset0:66 offset1:134
	v_lshrrev_b32_e32 v28, 16, v41
	s_waitcnt vmcnt(7)
	v_mul_f16_sdwa v40, v28, v54 dst_sel:DWORD dst_unused:UNUSED_PAD src0_sel:DWORD src1_sel:WORD_1
	v_fma_f16 v47, v41, v54, -v40
	v_add_u32_e32 v40, 0xa00, v63
	ds_read2_b32 v[44:45], v40 offset0:74 offset1:142
	v_mul_f16_sdwa v41, v41, v54 dst_sel:DWORD dst_unused:UNUSED_PAD src0_sel:DWORD src1_sel:WORD_1
	v_fma_f16 v28, v28, v54, v41
	v_pack_b32_f16 v28, v47, v28
	ds_read2_b32 v[54:55], v48 offset0:16 offset1:84
	ds_write2_b32 v63, v46, v28 offset0:136 offset1:204
	s_waitcnt lgkmcnt(2)
	v_lshrrev_b32_e32 v28, 16, v44
	s_waitcnt vmcnt(6)
	v_mul_f16_sdwa v41, v28, v56 dst_sel:DWORD dst_unused:UNUSED_PAD src0_sel:DWORD src1_sel:WORD_1
	v_fma_f16 v41, v44, v56, -v41
	v_mul_f16_sdwa v44, v44, v56 dst_sel:DWORD dst_unused:UNUSED_PAD src0_sel:DWORD src1_sel:WORD_1
	v_fma_f16 v28, v28, v56, v44
	v_pack_b32_f16 v28, v41, v28
	s_waitcnt lgkmcnt(1)
	v_lshrrev_b32_e32 v41, 16, v54
	s_waitcnt vmcnt(5)
	v_mul_f16_sdwa v44, v41, v57 dst_sel:DWORD dst_unused:UNUSED_PAD src0_sel:DWORD src1_sel:WORD_1
	v_mul_f16_sdwa v46, v54, v57 dst_sel:DWORD dst_unused:UNUSED_PAD src0_sel:DWORD src1_sel:WORD_1
	v_fma_f16 v44, v54, v57, -v44
	v_fma_f16 v41, v41, v57, v46
	v_pack_b32_f16 v41, v44, v41
	v_lshrrev_b32_e32 v44, 16, v45
	s_waitcnt vmcnt(4)
	v_mul_f16_sdwa v46, v44, v58 dst_sel:DWORD dst_unused:UNUSED_PAD src0_sel:DWORD src1_sel:WORD_1
	v_fma_f16 v46, v45, v58, -v46
	v_mul_f16_sdwa v45, v45, v58 dst_sel:DWORD dst_unused:UNUSED_PAD src0_sel:DWORD src1_sel:WORD_1
	v_fma_f16 v44, v44, v58, v45
	v_pack_b32_f16 v44, v46, v44
	ds_write2_b32 v40, v28, v44 offset0:74 offset1:142
	v_lshrrev_b32_e32 v28, 16, v55
	s_waitcnt vmcnt(3)
	v_mul_f16_sdwa v44, v28, v59 dst_sel:DWORD dst_unused:UNUSED_PAD src0_sel:DWORD src1_sel:WORD_1
	v_fma_f16 v46, v55, v59, -v44
	ds_read2_b32 v[44:45], v50 offset0:82 offset1:150
	v_mul_f16_sdwa v47, v55, v59 dst_sel:DWORD dst_unused:UNUSED_PAD src0_sel:DWORD src1_sel:WORD_1
	v_fma_f16 v28, v28, v59, v47
	v_pack_b32_f16 v28, v46, v28
	ds_write2_b32 v48, v41, v28 offset0:16 offset1:84
	s_waitcnt lgkmcnt(1)
	v_lshrrev_b32_e32 v28, 16, v44
	s_waitcnt vmcnt(1)
	v_mul_f16_sdwa v41, v28, v61 dst_sel:DWORD dst_unused:UNUSED_PAD src0_sel:DWORD src1_sel:WORD_1
	v_fma_f16 v41, v44, v61, -v41
	v_mul_f16_sdwa v44, v44, v61 dst_sel:DWORD dst_unused:UNUSED_PAD src0_sel:DWORD src1_sel:WORD_1
	v_fma_f16 v28, v28, v61, v44
	v_pack_b32_f16 v28, v41, v28
	v_lshrrev_b32_e32 v41, 16, v43
	v_mul_f16_sdwa v44, v41, v60 dst_sel:DWORD dst_unused:UNUSED_PAD src0_sel:DWORD src1_sel:WORD_1
	v_fma_f16 v44, v43, v60, -v44
	v_mul_f16_sdwa v43, v43, v60 dst_sel:DWORD dst_unused:UNUSED_PAD src0_sel:DWORD src1_sel:WORD_1
	v_fma_f16 v41, v41, v60, v43
	v_pack_b32_f16 v41, v44, v41
	ds_write2_b32 v48, v41, v29 offset0:152 offset1:254
	v_lshrrev_b32_e32 v29, 16, v45
	s_waitcnt vmcnt(0)
	v_mul_f16_sdwa v41, v29, v62 dst_sel:DWORD dst_unused:UNUSED_PAD src0_sel:DWORD src1_sel:WORD_1
	v_mul_f16_sdwa v43, v45, v62 dst_sel:DWORD dst_unused:UNUSED_PAD src0_sel:DWORD src1_sel:WORD_1
	v_fma_f16 v41, v45, v62, -v41
	v_fma_f16 v29, v29, v62, v43
	v_pack_b32_f16 v29, v41, v29
	ds_write2_b32 v50, v28, v29 offset0:82 offset1:150
	s_and_saveexec_b64 s[4:5], s[0:1]
	s_cbranch_execz .LBB0_17
; %bb.16:
	v_mov_b32_e32 v28, s3
	v_add_co_u32_e64 v43, s[2:3], s2, v39
	v_addc_co_u32_e64 v44, s[2:3], 0, v28, s[2:3]
	global_load_dword v28, v[43:44], off offset:1904
	global_load_dword v29, v[43:44], off offset:3944
	ds_read_b32 v39, v63 offset:1904
	ds_read_b32 v41, v63 offset:3944
	s_waitcnt lgkmcnt(1)
	v_lshrrev_b32_e32 v43, 16, v39
	s_waitcnt lgkmcnt(0)
	v_lshrrev_b32_e32 v44, 16, v41
	s_waitcnt vmcnt(1)
	v_mul_f16_sdwa v45, v43, v28 dst_sel:DWORD dst_unused:UNUSED_PAD src0_sel:DWORD src1_sel:WORD_1
	v_mul_f16_sdwa v46, v39, v28 dst_sel:DWORD dst_unused:UNUSED_PAD src0_sel:DWORD src1_sel:WORD_1
	s_waitcnt vmcnt(0)
	v_mul_f16_sdwa v47, v44, v29 dst_sel:DWORD dst_unused:UNUSED_PAD src0_sel:DWORD src1_sel:WORD_1
	v_mul_f16_sdwa v49, v41, v29 dst_sel:DWORD dst_unused:UNUSED_PAD src0_sel:DWORD src1_sel:WORD_1
	v_fma_f16 v39, v39, v28, -v45
	v_fma_f16 v28, v43, v28, v46
	v_fma_f16 v41, v41, v29, -v47
	v_fma_f16 v29, v44, v29, v49
	v_pack_b32_f16 v28, v39, v28
	v_pack_b32_f16 v29, v41, v29
	ds_write_b32 v63, v28 offset:1904
	ds_write_b32 v63, v29 offset:3944
.LBB0_17:
	s_or_b64 exec, exec, s[4:5]
	s_waitcnt lgkmcnt(0)
	s_barrier
	ds_read2_b32 v[59:60], v63 offset1:68
	ds_read2_b32 v[43:44], v48 offset0:152 offset1:254
	ds_read2_b32 v[41:42], v42 offset0:66 offset1:134
	;; [unrolled: 1-line block ×6, first 2 shown]
	s_and_saveexec_b64 s[2:3], s[0:1]
	s_cbranch_execz .LBB0_19
; %bb.18:
	ds_read_b32 v109, v64 offset:1904
	ds_read_b32 v51, v64 offset:3944
	s_waitcnt lgkmcnt(1)
	v_lshrrev_b32_e32 v110, 16, v109
	s_waitcnt lgkmcnt(0)
	v_lshrrev_b32_e32 v53, 16, v51
.LBB0_19:
	s_or_b64 exec, exec, s[2:3]
	s_waitcnt lgkmcnt(5)
	v_pk_add_f16 v40, v59, v44 neg_lo:[0,1] neg_hi:[0,1]
	s_waitcnt lgkmcnt(4)
	v_pk_add_f16 v54, v60, v41 neg_lo:[0,1] neg_hi:[0,1]
	;; [unrolled: 2-line block ×6, first 2 shown]
	v_pk_add_f16 v44, v43, v62 neg_lo:[0,1] neg_hi:[0,1]
	v_sub_f16_e32 v42, v109, v51
	v_sub_f16_e32 v111, v110, v53
	v_fma_f16 v41, v109, 2.0, -v42
	v_fma_f16 v62, v110, 2.0, -v111
	v_pk_fma_f16 v39, v59, 2.0, v40 op_sel_hi:[1,0,1] neg_lo:[0,0,1] neg_hi:[0,0,1]
	v_pk_fma_f16 v53, v60, 2.0, v54 op_sel_hi:[1,0,1] neg_lo:[0,0,1] neg_hi:[0,0,1]
	;; [unrolled: 1-line block ×7, first 2 shown]
	s_barrier
	ds_write_b64 v205, v[39:40]
	ds_write_b64 v156, v[53:54]
	ds_write_b64 v194, v[51:52]
	ds_write_b64 v197, v[47:48]
	ds_write_b64 v161, v[49:50]
	ds_write_b64 v181, v[45:46]
	ds_write_b64 v188, v[43:44]
	s_and_saveexec_b64 s[2:3], s[0:1]
	s_cbranch_execz .LBB0_21
; %bb.20:
	s_mov_b32 s4, 0x5040100
	v_perm_b32 v56, v111, v42, s4
	v_perm_b32 v55, v62, v41, s4
	ds_write_b64 v152, v[55:56]
.LBB0_21:
	s_or_b64 exec, exec, s[2:3]
	v_lshrrev_b32_e32 v55, 16, v39
	v_lshrrev_b32_e32 v61, 16, v53
	;; [unrolled: 1-line block ×7, first 2 shown]
	s_waitcnt lgkmcnt(0)
	s_barrier
	s_and_saveexec_b64 s[2:3], vcc
	s_cbranch_execz .LBB0_23
; %bb.22:
	v_add_u32_e32 v28, 0x200, v63
	ds_read2_b32 v[39:40], v63 offset1:60
	ds_read2_b32 v[53:54], v63 offset0:120 offset1:180
	ds_read2_b32 v[51:52], v28 offset0:112 offset1:172
	v_add_u32_e32 v28, 0x400, v63
	ds_read2_b32 v[47:48], v28 offset0:104 offset1:164
	v_add_u32_e32 v28, 0x600, v63
	;; [unrolled: 2-line block ×5, first 2 shown]
	ds_read2_b32 v[41:42], v28 offset0:72 offset1:132
	ds_read_b32 v105, v63 offset:3840
	s_waitcnt lgkmcnt(8)
	v_lshrrev_b32_e32 v55, 16, v39
	s_waitcnt lgkmcnt(7)
	v_lshrrev_b32_e32 v61, 16, v53
	;; [unrolled: 2-line block ×8, first 2 shown]
	v_lshrrev_b32_e32 v111, 16, v42
	s_waitcnt lgkmcnt(0)
	v_lshrrev_b32_e32 v107, 16, v105
.LBB0_23:
	s_or_b64 exec, exec, s[2:3]
	v_lshrrev_b32_e32 v28, 16, v40
	v_mul_f16_sdwa v29, v0, v28 dst_sel:DWORD dst_unused:UNUSED_PAD src0_sel:WORD_1 src1_sel:DWORD
	v_fma_f16 v56, v0, v40, v29
	v_mul_f16_sdwa v29, v0, v40 dst_sel:DWORD dst_unused:UNUSED_PAD src0_sel:WORD_1 src1_sel:DWORD
	v_fma_f16 v0, v0, v28, -v29
	v_mul_f16_sdwa v28, v1, v61 dst_sel:DWORD dst_unused:UNUSED_PAD src0_sel:WORD_1 src1_sel:DWORD
	v_fma_f16 v57, v1, v53, v28
	v_mul_f16_sdwa v28, v1, v53 dst_sel:DWORD dst_unused:UNUSED_PAD src0_sel:WORD_1 src1_sel:DWORD
	v_fma_f16 v1, v1, v61, -v28
	v_lshrrev_b32_e32 v28, 16, v54
	v_mul_f16_sdwa v29, v2, v28 dst_sel:DWORD dst_unused:UNUSED_PAD src0_sel:WORD_1 src1_sel:DWORD
	v_fma_f16 v53, v2, v54, v29
	v_mul_f16_sdwa v29, v2, v54 dst_sel:DWORD dst_unused:UNUSED_PAD src0_sel:WORD_1 src1_sel:DWORD
	v_fma_f16 v2, v2, v28, -v29
	v_mul_f16_sdwa v28, v3, v59 dst_sel:DWORD dst_unused:UNUSED_PAD src0_sel:WORD_1 src1_sel:DWORD
	v_fma_f16 v54, v3, v51, v28
	v_mul_f16_sdwa v28, v3, v51 dst_sel:DWORD dst_unused:UNUSED_PAD src0_sel:WORD_1 src1_sel:DWORD
	v_fma_f16 v3, v3, v59, -v28
	;; [unrolled: 9-line block ×7, first 2 shown]
	v_mul_f16_sdwa v11, v14, v111 dst_sel:DWORD dst_unused:UNUSED_PAD src0_sel:WORD_1 src1_sel:DWORD
	v_fma_f16 v62, v14, v42, v11
	v_mul_f16_sdwa v11, v14, v42 dst_sel:DWORD dst_unused:UNUSED_PAD src0_sel:WORD_1 src1_sel:DWORD
	v_fma_f16 v42, v14, v111, -v11
	v_mul_f16_sdwa v11, v15, v107 dst_sel:DWORD dst_unused:UNUSED_PAD src0_sel:WORD_1 src1_sel:DWORD
	v_fma_f16 v81, v15, v105, v11
	v_mul_f16_sdwa v11, v15, v105 dst_sel:DWORD dst_unused:UNUSED_PAD src0_sel:WORD_1 src1_sel:DWORD
	v_fma_f16 v44, v15, v107, -v11
	v_sub_f16_e32 v107, v0, v44
	v_add_f16_e32 v11, v81, v56
	v_add_f16_e32 v112, v44, v0
	s_movk_i32 s4, 0x39e9
	v_mul_f16_e32 v118, 0xb964, v107
	v_sub_f16_e32 v111, v1, v42
	v_sub_f16_e32 v58, v56, v81
	s_mov_b32 s13, 0xb964
	v_mul_f16_e32 v122, 0x39e9, v112
	v_fma_f16 v14, v11, s4, -v118
	v_add_f16_e32 v59, v62, v57
	v_add_f16_e32 v116, v42, v1
	s_movk_i32 s12, 0x2de8
	v_mul_f16_e32 v124, 0xbbf7, v111
	v_add_f16_e32 v14, v39, v14
	v_fma_f16 v15, v58, s13, v122
	s_movk_i32 s5, 0x3722
	v_mul_f16_e32 v130, 0xbb29, v107
	v_sub_f16_e32 v82, v57, v62
	s_mov_b32 s16, 0xbbf7
	v_mul_f16_e32 v128, 0x2de8, v116
	v_fma_f16 v40, v59, s12, -v124
	v_add_f16_e32 v15, v55, v15
	s_mov_b32 s15, 0xbb29
	v_mul_f16_e32 v135, 0x3722, v112
	v_fma_f16 v28, v11, s5, -v130
	v_add_f16_e32 v14, v40, v14
	v_fma_f16 v40, v82, s16, v128
	s_mov_b32 s14, 0xb8d2
	v_mul_f16_e32 v137, 0xba62, v111
	v_add_f16_e32 v28, v39, v28
	v_fma_f16 v29, v58, s15, v135
	v_add_f16_e32 v15, v40, v15
	s_mov_b32 s18, 0xba62
	v_mul_f16_e32 v143, 0xb8d2, v116
	v_fma_f16 v40, v59, s14, -v137
	v_sub_f16_e32 v115, v2, v13
	v_add_f16_e32 v29, v55, v29
	v_add_f16_e32 v28, v40, v28
	v_fma_f16 v40, v82, s18, v143
	v_add_f16_e32 v83, v61, v53
	v_add_f16_e32 v121, v13, v2
	v_mul_f16_e32 v127, 0xba62, v115
	v_add_f16_e32 v29, v40, v29
	v_sub_f16_e32 v85, v53, v61
	v_mul_f16_e32 v132, 0xb8d2, v121
	v_fma_f16 v40, v83, s14, -v127
	v_add_f16_e32 v14, v40, v14
	v_fma_f16 v40, v85, s18, v132
	s_mov_b32 s17, 0xbbdd
	v_mul_f16_e32 v142, 0x31e1, v115
	v_add_f16_e32 v15, v40, v15
	s_movk_i32 s24, 0x31e1
	v_mul_f16_e32 v149, 0xbbdd, v121
	v_fma_f16 v40, v83, s17, -v142
	v_sub_f16_e32 v120, v3, v12
	v_add_f16_e32 v28, v40, v28
	v_fma_f16 v40, v85, s24, v149
	v_add_f16_e32 v84, v60, v54
	v_add_f16_e32 v126, v12, v3
	v_mul_f16_e32 v133, 0xb1e1, v120
	v_add_f16_e32 v29, v40, v29
	v_sub_f16_e32 v105, v54, v60
	s_mov_b32 s20, 0xb1e1
	v_mul_f16_e32 v140, 0xbbdd, v126
	v_fma_f16 v40, v84, s17, -v133
	v_add_f16_e32 v14, v40, v14
	v_fma_f16 v40, v105, s20, v140
	s_mov_b32 s19, 0xb461
	v_mul_f16_e32 v150, 0x3bb2, v120
	v_add_f16_e32 v15, v40, v15
	v_mul_f16_e32 v153, 0xb461, v126
	v_fma_f16 v40, v84, s19, -v150
	v_sub_f16_e32 v125, v4, v43
	v_add_f16_e32 v28, v40, v28
	v_fma_f16 v40, v105, s26, v153
	v_add_f16_e32 v86, v46, v51
	v_add_f16_e32 v131, v43, v4
	v_mul_f16_e32 v141, 0x3836, v125
	v_add_f16_e32 v29, v40, v29
	v_sub_f16_e32 v110, v51, v46
	s_movk_i32 s27, 0x3836
	v_mul_f16_e32 v147, 0xbacd, v131
	v_fma_f16 v40, v86, s21, -v141
	v_add_f16_e32 v14, v40, v14
	v_fma_f16 v40, v110, s27, v147
	v_mul_f16_e32 v154, 0x3964, v125
	v_add_f16_e32 v15, v40, v15
	s_movk_i32 s28, 0x3964
	v_mul_f16_e32 v159, 0x39e9, v131
	v_fma_f16 v40, v86, s4, -v154
	v_sub_f16_e32 v129, v5, v10
	v_add_f16_e32 v28, v40, v28
	v_fma_f16 v40, v110, s28, v159
	v_add_f16_e32 v109, v45, v52
	v_add_f16_e32 v138, v10, v5
	v_mul_f16_e32 v146, 0x3bb2, v129
	v_add_f16_e32 v29, v40, v29
	v_sub_f16_e32 v114, v52, v45
	v_mul_f16_e32 v151, 0xb461, v138
	v_fma_f16 v40, v109, s19, -v146
	v_add_f16_e32 v14, v40, v14
	v_fma_f16 v40, v114, s26, v151
	s_movk_i32 s22, 0x3b76
	v_mul_f16_e32 v158, 0xb5c8, v129
	v_add_f16_e32 v15, v40, v15
	s_mov_b32 s23, 0xb5c8
	v_mul_f16_e32 v162, 0x3b76, v138
	v_fma_f16 v40, v109, s22, -v158
	v_sub_f16_e32 v134, v6, v9
	v_add_f16_e32 v28, v40, v28
	v_fma_f16 v40, v114, s23, v162
	v_add_f16_e32 v113, v50, v47
	v_add_f16_e32 v144, v9, v6
	v_mul_f16_e32 v152, 0x3b29, v134
	v_add_f16_e32 v29, v40, v29
	v_sub_f16_e32 v119, v47, v50
	s_movk_i32 s29, 0x3b29
	v_mul_f16_e32 v157, 0x3722, v144
	v_fma_f16 v40, v113, s5, -v152
	v_add_f16_e32 v14, v40, v14
	v_fma_f16 v40, v119, s29, v157
	v_mul_f16_e32 v161, 0xbbf7, v134
	v_add_f16_e32 v15, v40, v15
	v_mul_f16_e32 v164, 0x2de8, v144
	v_fma_f16 v40, v113, s12, -v161
	v_sub_f16_e32 v139, v7, v8
	v_add_f16_e32 v28, v40, v28
	v_fma_f16 v40, v119, s16, v164
	v_add_f16_e32 v117, v49, v48
	v_add_f16_e32 v148, v8, v7
	v_mul_f16_e32 v156, 0x35c8, v139
	v_add_f16_e32 v29, v40, v29
	v_sub_f16_e32 v123, v48, v49
	s_movk_i32 s30, 0x35c8
	v_mul_f16_e32 v160, 0x3b76, v148
	v_fma_f16 v40, v117, s22, -v156
	v_add_f16_e32 v14, v40, v14
	v_fma_f16 v40, v123, s30, v160
	v_mul_f16_e32 v163, 0xb836, v139
	v_add_f16_e32 v15, v40, v15
	s_mov_b32 s25, 0xb836
	v_mul_f16_e32 v165, 0xbacd, v148
	v_fma_f16 v40, v117, s21, -v163
	v_add_f16_e32 v40, v40, v28
	v_fma_f16 v28, v123, s25, v165
	v_add_f16_e32 v41, v28, v29
	s_barrier
	s_and_saveexec_b64 s[2:3], vcc
	s_cbranch_execz .LBB0_25
; %bb.24:
	v_mul_f16_e32 v194, 0xbbf7, v58
	v_fma_f16 v136, v112, s12, v194
	v_mul_f16_e32 v195, 0xb1e1, v82
	v_add_f16_e32 v136, v55, v136
	v_fma_f16 v145, v116, s17, v195
	v_mul_f16_e32 v196, 0x3bb2, v85
	v_add_f16_e32 v136, v145, v136
	;; [unrolled: 3-line block ×8, first 2 shown]
	v_fma_f16 v145, v11, s12, -v202
	v_mul_f16_e32 v203, 0xb1e1, v111
	v_add_f16_e32 v145, v39, v145
	v_fma_f16 v155, v59, s17, -v203
	v_mul_f16_e32 v204, 0x3bb2, v115
	v_add_f16_e32 v145, v155, v145
	v_fma_f16 v155, v83, s19, -v204
	v_mul_f16_e32 v206, 0x35c8, v120
	v_add_f16_e32 v145, v155, v145
	v_fma_f16 v155, v84, s22, -v206
	v_mul_f16_e32 v207, 0xbb29, v125
	v_add_f16_e32 v145, v155, v145
	v_fma_f16 v155, v86, s5, -v207
	v_mul_f16_e32 v208, 0xb836, v129
	v_add_f16_e32 v145, v155, v145
	v_fma_f16 v155, v109, s21, -v208
	v_mul_f16_e32 v209, 0x3a62, v134
	v_add_f16_e32 v145, v155, v145
	v_fma_f16 v155, v113, s14, -v209
	v_mul_f16_e32 v210, 0x3964, v139
	v_add_f16_e32 v145, v155, v145
	v_fma_f16 v155, v117, s4, -v210
	v_mul_f16_e32 v211, 0xbbb2, v58
	buffer_store_dword v28, off, s[40:43], 0 offset:4 ; 4-byte Folded Spill
	v_add_f16_e32 v28, v155, v145
	v_fma_f16 v155, v112, s19, v211
	v_mul_f16_e32 v212, 0x3836, v82
	v_add_f16_e32 v155, v55, v155
	v_fma_f16 v213, v116, s21, v212
	v_add_f16_e32 v155, v213, v155
	v_mul_f16_e32 v213, 0x3964, v85
	v_fma_f16 v214, v121, s4, v213
	v_add_f16_e32 v155, v214, v155
	v_mul_f16_e32 v214, 0xbb29, v105
	;; [unrolled: 3-line block ×6, first 2 shown]
	v_fma_f16 v219, v148, s14, v218
	buffer_store_dword v28, off, s[40:43], 0 offset:8 ; 4-byte Folded Spill
	v_add_f16_e32 v28, v219, v155
	v_mul_f16_e32 v219, 0xbbb2, v107
	v_fma_f16 v220, v11, s19, -v219
	v_mul_f16_e32 v221, 0x3836, v111
	v_add_f16_e32 v220, v39, v220
	v_fma_f16 v222, v59, s21, -v221
	v_add_f16_e32 v220, v222, v220
	v_mul_f16_e32 v222, 0x3964, v115
	v_fma_f16 v223, v83, s4, -v222
	v_add_f16_e32 v220, v223, v220
	v_mul_f16_e32 v223, 0xbb29, v120
	;; [unrolled: 3-line block ×6, first 2 shown]
	v_fma_f16 v228, v117, s14, -v227
	buffer_store_dword v28, off, s[40:43], 0 offset:12 ; 4-byte Folded Spill
	v_add_f16_e32 v28, v228, v220
	v_mul_f16_e32 v228, 0xba62, v58
	v_fma_f16 v229, v112, s14, v228
	v_mul_f16_e32 v230, 0x3bb2, v82
	v_add_f16_e32 v229, v55, v229
	v_fma_f16 v231, v116, s19, v230
	v_add_f16_e32 v229, v231, v229
	v_mul_f16_e32 v231, 0xb5c8, v85
	v_fma_f16 v232, v121, s22, v231
	v_add_f16_e32 v229, v232, v229
	v_mul_f16_e32 v232, 0xb836, v105
	;; [unrolled: 3-line block ×6, first 2 shown]
	v_fma_f16 v237, v148, s5, v236
	buffer_store_dword v28, off, s[40:43], 0 offset:16 ; 4-byte Folded Spill
	v_add_f16_e32 v28, v237, v229
	v_mul_f16_e32 v237, 0xba62, v107
	v_fma_f16 v238, v11, s14, -v237
	v_mul_f16_e32 v239, 0x3bb2, v111
	v_add_f16_e32 v238, v39, v238
	v_fma_f16 v240, v59, s19, -v239
	v_add_f16_e32 v238, v240, v238
	v_mul_f16_e32 v240, 0xb5c8, v115
	v_fma_f16 v241, v83, s22, -v240
	v_add_f16_e32 v238, v241, v238
	v_mul_f16_e32 v241, 0xb836, v120
	v_fma_f16 v242, v84, s21, -v241
	v_add_f16_e32 v238, v242, v238
	v_mul_f16_e32 v242, 0x3bf7, v125
	v_fma_f16 v243, v86, s12, -v242
	v_add_f16_e32 v238, v243, v238
	v_mul_f16_e32 v243, 0xb964, v129
	v_fma_f16 v244, v109, s4, -v243
	v_add_f16_e32 v238, v244, v238
	v_mul_f16_e32 v244, 0xb1e1, v134
	v_fma_f16 v245, v113, s17, -v244
	v_add_f16_e32 v238, v245, v238
	v_mul_f16_e32 v245, 0x3b29, v139
	v_fma_f16 v246, v117, s5, -v245
	v_add_f16_e32 v238, v246, v238
	v_mul_f16_e32 v246, 0xb836, v58
	v_fma_f16 v247, v112, s21, v246
	v_mul_f16_e32 v248, 0x3b29, v82
	v_add_f16_e32 v247, v55, v247
	v_fma_f16 v249, v116, s5, v248
	v_add_f16_e32 v247, v249, v247
	v_mul_f16_e32 v249, 0xbbf7, v85
	v_fma_f16 v250, v121, s12, v249
	v_add_f16_e32 v247, v250, v247
	v_mul_f16_e32 v250, 0x3a62, v105
	v_fma_f16 v251, v126, s14, v250
	v_add_f16_e32 v247, v251, v247
	v_mul_f16_e32 v251, 0xb5c8, v110
	v_fma_f16 v252, v131, s22, v251
	v_add_f16_e32 v247, v252, v247
	v_mul_f16_e32 v252, 0xb1e1, v114
	v_fma_f16 v253, v138, s17, v252
	v_add_f16_e32 v247, v253, v247
	v_mul_f16_e32 v253, 0x3964, v119
	v_fma_f16 v254, v144, s4, v253
	v_add_f16_e32 v247, v254, v247
	v_mul_f16_e32 v254, 0xbbb2, v123
	v_fma_f16 v255, v148, s19, v254
	v_add_f16_e32 v247, v255, v247
	v_mul_f16_e32 v255, 0xb836, v107
	v_fma_f16 v96, v11, s21, -v255
	v_mul_f16_e32 v95, 0x3b29, v111
	v_add_f16_e32 v96, v39, v96
	v_fma_f16 v97, v59, s5, -v95
	v_add_f16_e32 v96, v97, v96
	v_mul_f16_e32 v97, 0xbbf7, v115
	v_fma_f16 v98, v83, s12, -v97
	v_add_f16_e32 v96, v98, v96
	v_mul_f16_e32 v98, 0x3a62, v120
	;; [unrolled: 3-line block ×7, first 2 shown]
	v_fma_f16 v145, v112, s17, v136
	v_mul_f16_e32 v108, 0x35c8, v82
	v_add_f16_e32 v145, v55, v145
	v_fma_f16 v155, v116, s22, v108
	v_add_f16_e32 v145, v155, v145
	v_mul_f16_e32 v155, 0xb836, v85
	v_fma_f16 v220, v121, s21, v155
	v_add_f16_e32 v145, v220, v145
	v_mul_f16_e32 v220, 0x3964, v105
	buffer_store_dword v28, off, s[40:43], 0 offset:20 ; 4-byte Folded Spill
	v_fma_f16 v28, v126, s4, v220
	v_add_f16_e32 v28, v28, v145
	v_mul_f16_e32 v145, 0xba62, v110
	v_fma_f16 v166, v131, s14, v145
	v_add_f16_e32 v28, v166, v28
	v_mul_f16_e32 v166, 0x3b29, v114
	;; [unrolled: 3-line block ×4, first 2 shown]
	v_fma_f16 v229, v148, s12, v174
	v_fma_f16 v136, v112, s17, -v136
	v_add_f16_e32 v28, v229, v28
	v_mul_f16_e32 v229, 0xb1e1, v107
	v_add_f16_e32 v136, v55, v136
	v_fma_f16 v108, v116, s22, -v108
	v_fma_f16 v178, v11, s17, -v229
	v_mul_f16_e32 v103, 0x35c8, v111
	v_add_f16_e32 v108, v108, v136
	v_fma_f16 v136, v121, s21, -v155
	v_add_f16_e32 v178, v39, v178
	v_fma_f16 v186, v59, s22, -v103
	;; [unrolled: 2-line block ×3, first 2 shown]
	v_add_f16_e32 v178, v186, v178
	v_mul_f16_e32 v186, 0xb836, v115
	v_add_f16_e32 v108, v136, v108
	v_fma_f16 v136, v131, s14, -v145
	v_fma_f16 v190, v83, s21, -v186
	v_add_f16_e32 v108, v136, v108
	v_fma_f16 v136, v138, s5, -v166
	v_add_f16_e32 v178, v190, v178
	v_mul_f16_e32 v190, 0x3964, v120
	v_add_f16_e32 v108, v136, v108
	v_fma_f16 v136, v144, s19, -v170
	v_fma_f16 v29, v84, s4, -v190
	v_add_f16_e32 v108, v136, v108
	v_fma_f16 v136, v148, s12, -v174
	v_add_f16_e32 v29, v29, v178
	v_mul_f16_e32 v178, 0xba62, v125
	v_add_f16_e32 v108, v136, v108
	v_fma_f16 v136, v11, s17, v229
	v_fma_f16 v167, v86, s14, -v178
	v_add_f16_e32 v136, v39, v136
	v_fma_f16 v103, v59, s22, v103
	v_add_f16_e32 v29, v167, v29
	v_mul_f16_e32 v167, 0x3b29, v129
	v_add_f16_e32 v103, v103, v136
	v_fma_f16 v136, v83, s21, v186
	v_fma_f16 v171, v109, s5, -v167
	v_add_f16_e32 v103, v136, v103
	v_fma_f16 v136, v84, s4, v190
	;; [unrolled: 7-line block ×3, first 2 shown]
	v_add_f16_e32 v29, v175, v29
	v_mul_f16_e32 v175, 0x3bf7, v139
	v_add_f16_e32 v103, v136, v103
	v_fma_f16 v136, v113, s19, v171
	v_add_f16_e32 v103, v136, v103
	v_fma_f16 v136, v117, s12, v175
	v_add_f16_e32 v103, v136, v103
	v_fma_f16 v136, v112, s21, -v246
	v_add_f16_e32 v136, v55, v136
	v_fma_f16 v145, v116, s5, -v248
	v_mul_f16_e32 v80, 0xbb29, v58
	v_add_f16_e32 v136, v145, v136
	v_fma_f16 v145, v121, s12, -v249
	v_mul_f16_e32 v180, 0xba62, v82
	v_add_f16_e32 v136, v145, v136
	v_fma_f16 v145, v126, s14, -v250
	v_sub_f16_e32 v80, v135, v80
	buffer_store_dword v64, off, s[40:43], 0 ; 4-byte Folded Spill
	v_mul_f16_e32 v64, 0x31e1, v85
	v_add_f16_e32 v136, v145, v136
	v_fma_f16 v145, v131, s22, -v251
	v_add_f16_e32 v80, v55, v80
	v_sub_f16_e32 v135, v143, v180
	v_add_f16_e32 v136, v145, v136
	v_fma_f16 v145, v138, s17, -v252
	v_add_f16_e32 v80, v135, v80
	v_sub_f16_e32 v135, v149, v64
	v_mul_f16_e32 v64, 0x3722, v11
	v_add_f16_e32 v136, v145, v136
	v_fma_f16 v145, v144, s4, -v253
	v_add_f16_e32 v64, v64, v130
	v_mul_f16_e32 v130, 0xb8d2, v59
	v_add_f16_e32 v136, v145, v136
	v_fma_f16 v145, v148, s19, -v254
	v_add_f16_e32 v64, v39, v64
	v_add_f16_e32 v130, v130, v137
	;; [unrolled: 1-line block ×3, first 2 shown]
	v_fma_f16 v145, v11, s21, v255
	v_add_f16_e32 v64, v130, v64
	v_mul_f16_e32 v130, 0xbbdd, v83
	v_add_f16_e32 v145, v39, v145
	v_fma_f16 v95, v59, s5, v95
	v_add_f16_e32 v130, v130, v142
	v_add_f16_e32 v95, v95, v145
	v_fma_f16 v97, v83, s12, v97
	v_add_f16_e32 v64, v130, v64
	v_mul_f16_e32 v130, 0xb461, v84
	v_add_f16_e32 v95, v97, v95
	v_fma_f16 v97, v84, s14, v98
	v_add_f16_e32 v130, v130, v150
	v_add_f16_e32 v95, v97, v95
	;; [unrolled: 7-line block ×4, first 2 shown]
	v_fma_f16 v97, v112, s14, -v228
	v_add_f16_e32 v64, v130, v64
	v_mul_f16_e32 v130, 0x2de8, v113
	v_mul_f16_e32 v205, 0xbacd, v117
	v_add_f16_e32 v97, v55, v97
	v_fma_f16 v98, v116, s19, -v230
	v_add_f16_e32 v130, v130, v161
	v_add_f16_e32 v97, v98, v97
	v_fma_f16 v98, v121, s22, -v231
	v_add_f16_e32 v64, v130, v64
	v_add_f16_e32 v130, v205, v163
	;; [unrolled: 1-line block ×3, first 2 shown]
	v_fma_f16 v98, v126, s21, -v232
	v_add_f16_e32 v64, v130, v64
	v_mul_f16_e32 v130, 0xb964, v58
	v_add_f16_e32 v97, v98, v97
	v_fma_f16 v98, v131, s12, -v233
	v_sub_f16_e32 v122, v122, v130
	v_mul_f16_e32 v130, 0xbbf7, v82
	v_add_f16_e32 v97, v98, v97
	v_fma_f16 v98, v138, s4, -v234
	v_add_f16_e32 v122, v55, v122
	v_sub_f16_e32 v128, v128, v130
	v_add_f16_e32 v97, v98, v97
	v_fma_f16 v98, v144, s17, -v235
	v_add_f16_e32 v122, v128, v122
	v_mul_f16_e32 v128, 0xba62, v85
	v_add_f16_e32 v97, v98, v97
	v_fma_f16 v98, v148, s5, -v236
	v_sub_f16_e32 v128, v132, v128
	v_add_f16_e32 v97, v98, v97
	v_fma_f16 v98, v11, s14, v237
	v_add_f16_e32 v122, v128, v122
	v_mul_f16_e32 v128, 0xb1e1, v105
	v_add_f16_e32 v98, v39, v98
	v_fma_f16 v99, v59, s19, v239
	v_sub_f16_e32 v128, v140, v128
	v_add_f16_e32 v98, v99, v98
	v_fma_f16 v99, v83, s22, v240
	v_add_f16_e32 v122, v128, v122
	v_mul_f16_e32 v128, 0x3836, v110
	v_add_f16_e32 v98, v99, v98
	v_fma_f16 v99, v84, s21, v241
	;; [unrolled: 7-line block ×4, first 2 shown]
	v_sub_f16_e32 v128, v157, v128
	v_add_f16_e32 v98, v99, v98
	v_fma_f16 v99, v112, s19, -v211
	v_add_f16_e32 v122, v128, v122
	v_mul_f16_e32 v128, 0x35c8, v123
	v_add_f16_e32 v99, v55, v99
	v_fma_f16 v100, v116, s21, -v212
	v_sub_f16_e32 v128, v160, v128
	v_add_f16_e32 v99, v100, v99
	v_fma_f16 v100, v121, s4, -v213
	v_add_f16_e32 v122, v128, v122
	v_mul_f16_e32 v128, 0x39e9, v11
	v_add_f16_e32 v99, v100, v99
	v_fma_f16 v100, v126, s5, -v214
	v_add_f16_e32 v118, v128, v118
	v_mul_f16_e32 v128, 0x2de8, v59
	v_add_f16_e32 v99, v100, v99
	v_fma_f16 v100, v131, s17, -v215
	v_add_f16_e32 v118, v39, v118
	v_add_f16_e32 v124, v128, v124
	;; [unrolled: 1-line block ×3, first 2 shown]
	v_fma_f16 v100, v138, s12, -v216
	v_add_f16_e32 v118, v124, v118
	v_mul_f16_e32 v124, 0xb8d2, v83
	v_add_f16_e32 v99, v100, v99
	v_fma_f16 v100, v144, s22, -v217
	v_add_f16_e32 v124, v124, v127
	v_add_f16_e32 v99, v100, v99
	v_fma_f16 v100, v148, s14, -v218
	v_add_f16_e32 v118, v124, v118
	v_mul_f16_e32 v124, 0xbbdd, v84
	v_add_f16_e32 v99, v100, v99
	v_fma_f16 v100, v11, s19, v219
	v_add_f16_e32 v124, v124, v133
	v_add_f16_e32 v100, v39, v100
	v_fma_f16 v101, v59, s21, v221
	v_add_f16_e32 v118, v124, v118
	v_mul_f16_e32 v124, 0xbacd, v86
	v_add_f16_e32 v100, v101, v100
	v_fma_f16 v101, v83, s4, v222
	v_add_f16_e32 v124, v124, v141
	v_add_f16_e32 v100, v101, v100
	v_fma_f16 v101, v84, s5, v223
	;; [unrolled: 7-line block ×4, first 2 shown]
	v_add_f16_e32 v118, v124, v118
	v_mul_f16_e32 v124, 0x3b76, v117
	v_add_f16_e32 v100, v101, v100
	v_fma_f16 v101, v112, s12, -v194
	v_add_f16_e32 v124, v124, v156
	v_mul_f16_e32 v112, 0x3b76, v112
	v_add_f16_e32 v101, v55, v101
	v_fma_f16 v102, v116, s17, -v195
	v_add_f16_e32 v118, v124, v118
	v_fma_f16 v124, v58, s30, v112
	v_mul_f16_e32 v116, 0x39e9, v116
	v_add_f16_e32 v101, v102, v101
	v_fma_f16 v102, v121, s19, -v196
	v_add_f16_e32 v124, v55, v124
	v_fma_f16 v127, v82, s28, v116
	v_mul_f16_e32 v121, 0x3722, v121
	s_movk_i32 s34, 0x3bf7
	v_add_f16_e32 v101, v102, v101
	v_fma_f16 v102, v126, s22, -v197
	v_add_f16_e32 v124, v127, v124
	v_fma_f16 v127, v85, s29, v121
	v_mul_f16_e32 v126, 0x2de8, v126
	v_add_f16_e32 v124, v127, v124
	v_fma_f16 v127, v105, s34, v126
	v_add_f16_e32 v124, v127, v124
	v_mul_f16_e32 v127, 0xb461, v131
	v_fma_f16 v128, v110, s26, v127
	v_add_f16_e32 v0, v0, v55
	s_movk_i32 s33, 0x3a62
	v_add_f16_e32 v124, v128, v124
	v_mul_f16_e32 v128, 0xb8d2, v138
	v_add_f16_e32 v0, v1, v0
	v_fma_f16 v1, v58, s23, v112
	v_fma_f16 v130, v114, s33, v128
	v_add_f16_e32 v0, v2, v0
	v_add_f16_e32 v1, v55, v1
	v_fma_f16 v2, v82, s13, v116
	v_add_f16_e32 v124, v130, v124
	v_mul_f16_e32 v130, 0xbacd, v144
	v_add_f16_e32 v1, v2, v1
	v_fma_f16 v2, v85, s15, v121
	s_mov_b32 s31, 0xbbb2
	v_add_f16_e32 v101, v102, v101
	v_fma_f16 v102, v131, s5, -v198
	v_fma_f16 v131, v119, s27, v130
	v_add_f16_e32 v56, v39, v56
	v_add_f16_e32 v1, v2, v1
	v_fma_f16 v2, v105, s16, v126
	v_add_f16_e32 v124, v131, v124
	v_mul_f16_e32 v131, 0xbbdd, v148
	v_add_f16_e32 v56, v57, v56
	v_add_f16_e32 v1, v2, v1
	v_fma_f16 v2, v110, s31, v127
	v_fma_f16 v132, v123, s24, v131
	v_mul_f16_e32 v107, 0xb5c8, v107
	v_add_f16_e32 v53, v53, v56
	v_add_f16_e32 v1, v2, v1
	v_fma_f16 v2, v114, s18, v128
	v_add_f16_e32 v124, v132, v124
	v_fma_f16 v132, v11, s22, v107
	v_mul_f16_e32 v111, 0xb964, v111
	v_add_f16_e32 v53, v54, v53
	v_add_f16_e32 v0, v3, v0
	v_add_f16_e32 v1, v2, v1
	v_fma_f16 v2, v119, s25, v130
	v_add_f16_e32 v132, v39, v132
	v_fma_f16 v133, v59, s4, v111
	v_mul_f16_e32 v115, 0xbb29, v115
	v_add_f16_e32 v51, v51, v53
	;; [unrolled: 7-line block ×3, first 2 shown]
	v_add_f16_e32 v0, v5, v0
	v_add_f16_e32 v1, v2, v1
	v_fma_f16 v2, v11, s22, -v107
	v_add_f16_e32 v101, v102, v101
	v_fma_f16 v102, v138, s21, -v199
	v_add_f16_e32 v132, v133, v132
	v_fma_f16 v133, v84, s12, v120
	v_mul_f16_e32 v125, 0xbbb2, v125
	v_add_f16_e32 v47, v47, v51
	v_add_f16_e32 v0, v6, v0
	;; [unrolled: 1-line block ×3, first 2 shown]
	v_fma_f16 v3, v59, s4, -v111
	v_add_f16_e32 v101, v102, v101
	v_fma_f16 v102, v144, s14, -v200
	v_add_f16_e32 v132, v133, v132
	v_fma_f16 v133, v86, s19, v125
	v_mul_f16_e32 v129, 0xba62, v129
	v_add_f16_e32 v47, v48, v47
	v_add_f16_e32 v0, v7, v0
	v_add_f16_e32 v2, v3, v2
	v_fma_f16 v3, v83, s5, -v115
	v_mul_f16_e32 v177, 0x3bb2, v105
	v_add_f16_e32 v101, v102, v101
	v_fma_f16 v102, v148, s4, -v201
	v_add_f16_e32 v132, v133, v132
	v_fma_f16 v133, v109, s14, v129
	v_add_f16_e32 v47, v49, v47
	v_add_f16_e32 v0, v8, v0
	;; [unrolled: 1-line block ×3, first 2 shown]
	v_fma_f16 v3, v84, s12, -v120
	v_mul_f16_e32 v181, 0x3964, v110
	v_add_f16_e32 v101, v102, v101
	v_fma_f16 v102, v11, s12, v202
	v_add_f16_e32 v80, v135, v80
	v_sub_f16_e32 v135, v153, v177
	v_add_f16_e32 v132, v133, v132
	v_mul_f16_e32 v133, 0xb836, v134
	v_add_f16_e32 v47, v50, v47
	v_add_f16_e32 v0, v9, v0
	;; [unrolled: 1-line block ×3, first 2 shown]
	v_fma_f16 v3, v86, s19, -v125
	v_mul_f16_e32 v185, 0xb5c8, v114
	v_add_f16_e32 v102, v39, v102
	v_fma_f16 v145, v59, s17, v203
	v_add_f16_e32 v80, v135, v80
	v_sub_f16_e32 v135, v159, v181
	v_fma_f16 v134, v113, s21, v133
	v_add_f16_e32 v45, v45, v47
	v_add_f16_e32 v0, v10, v0
	;; [unrolled: 1-line block ×3, first 2 shown]
	v_fma_f16 v3, v109, s14, -v129
	v_mul_f16_e32 v189, 0xbbf7, v119
	v_add_f16_e32 v102, v145, v102
	v_fma_f16 v145, v83, s19, v204
	v_add_f16_e32 v80, v135, v80
	v_sub_f16_e32 v135, v162, v185
	v_add_f16_e32 v132, v134, v132
	v_mul_f16_e32 v134, 0xb1e1, v139
	v_add_f16_e32 v45, v46, v45
	v_add_f16_e32 v0, v43, v0
	;; [unrolled: 1-line block ×3, first 2 shown]
	v_fma_f16 v3, v113, s21, -v133
	v_mul_f16_e32 v188, 0xb836, v123
	v_add_f16_e32 v102, v145, v102
	v_fma_f16 v145, v84, s22, v206
	v_add_f16_e32 v80, v135, v80
	v_sub_f16_e32 v135, v164, v189
	v_add_f16_e32 v45, v60, v45
	v_add_f16_e32 v0, v12, v0
	;; [unrolled: 1-line block ×3, first 2 shown]
	v_fma_f16 v3, v117, s17, -v134
	v_add_f16_e32 v102, v145, v102
	v_fma_f16 v145, v86, s5, v207
	v_add_f16_e32 v80, v135, v80
	v_sub_f16_e32 v135, v165, v188
	v_add_f16_e32 v45, v61, v45
	v_add_f16_e32 v0, v13, v0
	;; [unrolled: 1-line block ×3, first 2 shown]
	v_lshrrev_b32_e32 v3, 1, v76
	v_add_f16_e32 v102, v145, v102
	v_fma_f16 v145, v109, s21, v208
	v_add_f16_e32 v80, v135, v80
	v_fma_f16 v135, v117, s17, v134
	v_add_f16_e32 v45, v62, v45
	v_add_f16_e32 v0, v42, v0
	v_mul_u32_u24_e32 v3, 34, v3
	v_and_b32_e32 v4, 1, v76
	v_add_f16_e32 v102, v145, v102
	v_fma_f16 v145, v113, s14, v209
	v_add_f16_e32 v132, v135, v132
	v_add_f16_e32 v45, v81, v45
	;; [unrolled: 1-line block ×3, first 2 shown]
	v_or_b32_e32 v3, v3, v4
	v_add_f16_e32 v102, v145, v102
	v_fma_f16 v145, v117, s4, v210
	v_lshl_add_u32 v3, v3, 2, v79
	v_pack_b32_f16 v0, v45, v0
	v_pack_b32_f16 v4, v132, v124
	v_add_f16_e32 v102, v145, v102
	ds_write2_b32 v3, v0, v4 offset1:2
	v_pack_b32_f16 v0, v118, v122
	v_pack_b32_f16 v4, v64, v80
	v_fma_f16 v179, v117, s12, -v175
	ds_write2_b32 v3, v0, v4 offset0:4 offset1:6
	v_pack_b32_f16 v0, v102, v101
	v_pack_b32_f16 v4, v100, v99
	v_add_f16_e32 v29, v179, v29
	ds_write2_b32 v3, v0, v4 offset0:8 offset1:10
	v_pack_b32_f16 v0, v98, v97
	v_pack_b32_f16 v4, v95, v136
	ds_write2_b32 v3, v0, v4 offset0:12 offset1:14
	v_pack_b32_f16 v0, v103, v108
	v_pack_b32_f16 v4, v29, v28
	buffer_load_dword v64, off, s[40:43], 0 ; 4-byte Folded Reload
	ds_write2_b32 v3, v0, v4 offset0:16 offset1:18
	buffer_load_dword v4, off, s[40:43], 0 offset:20 ; 4-byte Folded Reload
	v_pack_b32_f16 v0, v96, v247
	s_mov_b32 s4, 0x5040100
	s_waitcnt vmcnt(0)
	v_pack_b32_f16 v4, v238, v4
	ds_write2_b32 v3, v0, v4 offset0:20 offset1:22
	buffer_load_dword v0, off, s[40:43], 0 offset:12 ; 4-byte Folded Reload
	buffer_load_dword v4, off, s[40:43], 0 offset:16 ; 4-byte Folded Reload
	s_waitcnt vmcnt(0)
	v_pack_b32_f16 v0, v4, v0
	buffer_load_dword v4, off, s[40:43], 0 offset:4 ; 4-byte Folded Reload
	buffer_load_dword v5, off, s[40:43], 0 offset:8 ; 4-byte Folded Reload
	s_waitcnt vmcnt(0)
	v_pack_b32_f16 v4, v5, v4
	ds_write2_b32 v3, v0, v4 offset0:24 offset1:26
	v_perm_b32 v0, v41, v40, s4
	v_perm_b32 v4, v15, v14, s4
	ds_write2_b32 v3, v0, v4 offset0:28 offset1:30
	v_pack_b32_f16 v0, v2, v1
	ds_write_b32 v3, v0 offset:128
.LBB0_25:
	s_or_b64 exec, exec, s[2:3]
	v_add_u32_e32 v2, 0x400, v63
	v_add_u32_e32 v3, 0x800, v63
	s_waitcnt lgkmcnt(0)
	s_barrier
	ds_read2_b32 v[4:5], v63 offset1:68
	ds_read2_b32 v[0:1], v2 offset0:152 offset1:254
	ds_read2_b32 v[12:13], v3 offset0:66 offset1:134
	;; [unrolled: 1-line block ×3, first 2 shown]
	v_add_u32_e32 v3, 0xa00, v63
	v_add_u32_e32 v8, 0xc00, v63
	ds_read2_b32 v[10:11], v3 offset0:74 offset1:142
	ds_read2_b32 v[2:3], v2 offset0:16 offset1:84
	;; [unrolled: 1-line block ×3, first 2 shown]
	s_and_saveexec_b64 s[2:3], s[0:1]
	s_cbranch_execz .LBB0_27
; %bb.26:
	ds_read_b32 v40, v63 offset:1904
	ds_read_b32 v14, v63 offset:3944
	s_waitcnt lgkmcnt(1)
	v_lshrrev_b32_e32 v41, 16, v40
	s_waitcnt lgkmcnt(0)
	v_lshrrev_b32_e32 v15, 16, v14
.LBB0_27:
	s_or_b64 exec, exec, s[2:3]
	s_waitcnt lgkmcnt(5)
	v_lshrrev_b32_e32 v29, 16, v1
	v_mul_f16_sdwa v55, v90, v29 dst_sel:DWORD dst_unused:UNUSED_PAD src0_sel:WORD_1 src1_sel:DWORD
	s_waitcnt lgkmcnt(4)
	v_lshrrev_b32_e32 v44, 16, v12
	v_fma_f16 v55, v90, v1, v55
	v_mul_f16_sdwa v1, v90, v1 dst_sel:DWORD dst_unused:UNUSED_PAD src0_sel:WORD_1 src1_sel:DWORD
	v_fma_f16 v1, v90, v29, -v1
	v_mul_f16_sdwa v29, v88, v44 dst_sel:DWORD dst_unused:UNUSED_PAD src0_sel:WORD_1 src1_sel:DWORD
	v_lshrrev_b32_e32 v46, 16, v13
	v_fma_f16 v29, v88, v12, v29
	v_mul_f16_sdwa v12, v88, v12 dst_sel:DWORD dst_unused:UNUSED_PAD src0_sel:WORD_1 src1_sel:DWORD
	v_fma_f16 v12, v88, v44, -v12
	v_mul_f16_sdwa v44, v91, v46 dst_sel:DWORD dst_unused:UNUSED_PAD src0_sel:WORD_1 src1_sel:DWORD
	s_waitcnt lgkmcnt(2)
	v_lshrrev_b32_e32 v48, 16, v10
	v_fma_f16 v44, v91, v13, v44
	v_mul_f16_sdwa v13, v91, v13 dst_sel:DWORD dst_unused:UNUSED_PAD src0_sel:WORD_1 src1_sel:DWORD
	v_fma_f16 v13, v91, v46, -v13
	v_mul_f16_sdwa v46, v89, v48 dst_sel:DWORD dst_unused:UNUSED_PAD src0_sel:WORD_1 src1_sel:DWORD
	v_lshrrev_b32_e32 v50, 16, v11
	v_fma_f16 v46, v89, v10, v46
	v_mul_f16_sdwa v10, v89, v10 dst_sel:DWORD dst_unused:UNUSED_PAD src0_sel:WORD_1 src1_sel:DWORD
	v_fma_f16 v10, v89, v48, -v10
	;; [unrolled: 11-line block ×3, first 2 shown]
	v_mul_f16_sdwa v52, v94, v54 dst_sel:DWORD dst_unused:UNUSED_PAD src0_sel:WORD_1 src1_sel:DWORD
	v_lshrrev_b32_e32 v28, 16, v4
	v_fma_f16 v52, v94, v9, v52
	v_mul_f16_sdwa v9, v94, v9 dst_sel:DWORD dst_unused:UNUSED_PAD src0_sel:WORD_1 src1_sel:DWORD
	v_lshrrev_b32_e32 v43, 16, v5
	v_fma_f16 v9, v94, v54, -v9
	v_sub_f16_e32 v54, v4, v55
	v_sub_f16_e32 v1, v28, v1
	v_lshrrev_b32_e32 v45, 16, v6
	v_fma_f16 v4, v4, 2.0, -v54
	v_fma_f16 v28, v28, 2.0, -v1
	v_sub_f16_e32 v29, v5, v29
	v_sub_f16_e32 v12, v43, v12
	v_lshrrev_b32_e32 v47, 16, v7
	v_fma_f16 v5, v5, 2.0, -v29
	v_fma_f16 v43, v43, 2.0, -v12
	v_sub_f16_e32 v44, v6, v44
	v_sub_f16_e32 v13, v45, v13
	v_pack_b32_f16 v4, v4, v28
	v_pack_b32_f16 v1, v54, v1
	v_lshrrev_b32_e32 v49, 16, v2
	v_fma_f16 v6, v6, 2.0, -v44
	v_fma_f16 v45, v45, 2.0, -v13
	v_sub_f16_e32 v46, v7, v46
	v_sub_f16_e32 v10, v47, v10
	s_barrier
	ds_write2_b32 v173, v4, v1 offset1:34
	v_pack_b32_f16 v1, v5, v43
	v_pack_b32_f16 v4, v29, v12
	v_lshrrev_b32_e32 v51, 16, v3
	v_fma_f16 v7, v7, 2.0, -v46
	v_fma_f16 v47, v47, 2.0, -v10
	v_sub_f16_e32 v48, v2, v48
	v_sub_f16_e32 v11, v49, v11
	ds_write2_b32 v172, v1, v4 offset1:34
	v_pack_b32_f16 v1, v6, v45
	v_pack_b32_f16 v4, v44, v13
	v_lshrrev_b32_e32 v53, 16, v0
	v_fma_f16 v2, v2, 2.0, -v48
	v_fma_f16 v49, v49, 2.0, -v11
	v_sub_f16_e32 v50, v3, v50
	v_sub_f16_e32 v8, v51, v8
	ds_write2_b32 v169, v1, v4 offset1:34
	v_pack_b32_f16 v1, v7, v47
	v_pack_b32_f16 v4, v46, v10
	v_fma_f16 v3, v3, 2.0, -v50
	v_fma_f16 v51, v51, 2.0, -v8
	v_sub_f16_e32 v52, v0, v52
	v_sub_f16_e32 v9, v53, v9
	ds_write2_b32 v168, v1, v4 offset1:34
	v_pack_b32_f16 v1, v2, v49
	v_pack_b32_f16 v2, v48, v11
	v_fma_f16 v0, v0, 2.0, -v52
	v_fma_f16 v53, v53, 2.0, -v9
	ds_write2_b32 v182, v1, v2 offset1:34
	v_pack_b32_f16 v1, v3, v51
	v_pack_b32_f16 v2, v50, v8
	v_add_u32_e32 v42, 0x110, v63
	v_add_u32_e32 v39, 0x220, v63
	ds_write2_b32 v191, v1, v2 offset1:34
	v_pack_b32_f16 v0, v0, v53
	v_pack_b32_f16 v1, v52, v9
	ds_write2_b32 v187, v0, v1 offset1:34
	s_and_saveexec_b64 s[2:3], s[0:1]
	s_cbranch_execz .LBB0_29
; %bb.28:
	v_mul_f16_sdwa v0, v87, v15 dst_sel:DWORD dst_unused:UNUSED_PAD src0_sel:WORD_1 src1_sel:DWORD
	v_mul_f16_sdwa v2, v87, v14 dst_sel:DWORD dst_unused:UNUSED_PAD src0_sel:WORD_1 src1_sel:DWORD
	v_fma_f16 v0, v87, v14, v0
	v_fma_f16 v2, v87, v15, -v2
	v_sub_f16_e32 v0, v40, v0
	v_sub_f16_e32 v2, v41, v2
	v_fma_f16 v1, v40, 2.0, -v0
	v_fma_f16 v3, v41, 2.0, -v2
	v_pack_b32_f16 v1, v1, v3
	v_pack_b32_f16 v0, v0, v2
	v_add_u32_e32 v2, 0xc00, v176
	ds_write2_b32 v2, v1, v0 offset0:184 offset1:218
.LBB0_29:
	s_or_b64 exec, exec, s[2:3]
	v_add_u32_e32 v4, 0x400, v63
	s_waitcnt lgkmcnt(0)
	s_barrier
	ds_read2_b32 v[6:7], v4 offset0:16 offset1:84
	v_add_u32_e32 v5, 0x800, v63
	ds_read2_b32 v[8:9], v5 offset0:168 offset1:236
	ds_read2_b32 v[10:11], v4 offset0:152 offset1:220
	v_add_u32_e32 v3, 0xc00, v63
	s_waitcnt lgkmcnt(2)
	v_lshrrev_b32_e32 v28, 16, v7
	v_mul_f16_sdwa v56, v31, v28 dst_sel:DWORD dst_unused:UNUSED_PAD src0_sel:WORD_1 src1_sel:DWORD
	s_waitcnt lgkmcnt(1)
	v_lshrrev_b32_e32 v29, 16, v8
	v_fma_f16 v56, v31, v7, v56
	v_mul_f16_sdwa v7, v31, v7 dst_sel:DWORD dst_unused:UNUSED_PAD src0_sel:WORD_1 src1_sel:DWORD
	v_fma_f16 v7, v31, v28, -v7
	v_mul_f16_sdwa v28, v32, v29 dst_sel:DWORD dst_unused:UNUSED_PAD src0_sel:WORD_1 src1_sel:DWORD
	s_waitcnt lgkmcnt(0)
	v_lshrrev_b32_e32 v44, 16, v10
	v_fma_f16 v28, v32, v8, v28
	v_mul_f16_sdwa v8, v32, v8 dst_sel:DWORD dst_unused:UNUSED_PAD src0_sel:WORD_1 src1_sel:DWORD
	ds_read2_b32 v[14:15], v3 offset0:48 offset1:116
	v_fma_f16 v8, v32, v29, -v8
	v_mul_f16_sdwa v29, v31, v44 dst_sel:DWORD dst_unused:UNUSED_PAD src0_sel:WORD_1 src1_sel:DWORD
	v_lshrrev_b32_e32 v45, 16, v9
	v_fma_f16 v29, v31, v10, v29
	v_mul_f16_sdwa v10, v31, v10 dst_sel:DWORD dst_unused:UNUSED_PAD src0_sel:WORD_1 src1_sel:DWORD
	ds_read2_b32 v[40:41], v5 offset0:32 offset1:100
	v_fma_f16 v10, v31, v44, -v10
	v_mul_f16_sdwa v31, v32, v45 dst_sel:DWORD dst_unused:UNUSED_PAD src0_sel:WORD_1 src1_sel:DWORD
	v_lshrrev_b32_e32 v47, 16, v11
	v_fma_f16 v31, v32, v9, v31
	v_mul_f16_sdwa v9, v32, v9 dst_sel:DWORD dst_unused:UNUSED_PAD src0_sel:WORD_1 src1_sel:DWORD
	v_fma_f16 v9, v32, v45, -v9
	v_mul_f16_sdwa v32, v33, v47 dst_sel:DWORD dst_unused:UNUSED_PAD src0_sel:WORD_1 src1_sel:DWORD
	s_waitcnt lgkmcnt(1)
	v_lshrrev_b32_e32 v48, 16, v14
	v_fma_f16 v32, v33, v11, v32
	v_mul_f16_sdwa v11, v33, v11 dst_sel:DWORD dst_unused:UNUSED_PAD src0_sel:WORD_1 src1_sel:DWORD
	v_fma_f16 v11, v33, v47, -v11
	v_mul_f16_sdwa v33, v34, v48 dst_sel:DWORD dst_unused:UNUSED_PAD src0_sel:WORD_1 src1_sel:DWORD
	s_waitcnt lgkmcnt(0)
	v_lshrrev_b32_e32 v51, 16, v40
	v_fma_f16 v33, v34, v14, v33
	v_mul_f16_sdwa v14, v34, v14 dst_sel:DWORD dst_unused:UNUSED_PAD src0_sel:WORD_1 src1_sel:DWORD
	ds_read_b32 v50, v63 offset:3808
	v_fma_f16 v14, v34, v48, -v14
	v_mul_f16_sdwa v34, v35, v51 dst_sel:DWORD dst_unused:UNUSED_PAD src0_sel:WORD_1 src1_sel:DWORD
	v_lshrrev_b32_e32 v52, 16, v15
	v_fma_f16 v34, v35, v40, v34
	v_mul_f16_sdwa v40, v35, v40 dst_sel:DWORD dst_unused:UNUSED_PAD src0_sel:WORD_1 src1_sel:DWORD
	ds_read2_b32 v[0:1], v63 offset1:68
	v_fma_f16 v35, v35, v51, -v40
	v_mul_f16_sdwa v40, v36, v52 dst_sel:DWORD dst_unused:UNUSED_PAD src0_sel:WORD_1 src1_sel:DWORD
	v_lshrrev_b32_e32 v54, 16, v41
	v_fma_f16 v40, v36, v15, v40
	v_mul_f16_sdwa v15, v36, v15 dst_sel:DWORD dst_unused:UNUSED_PAD src0_sel:WORD_1 src1_sel:DWORD
	v_fma_f16 v15, v36, v52, -v15
	v_mul_f16_sdwa v36, v37, v54 dst_sel:DWORD dst_unused:UNUSED_PAD src0_sel:WORD_1 src1_sel:DWORD
	s_waitcnt lgkmcnt(1)
	v_lshrrev_b32_e32 v55, 16, v50
	v_fma_f16 v36, v37, v41, v36
	v_mul_f16_sdwa v41, v37, v41 dst_sel:DWORD dst_unused:UNUSED_PAD src0_sel:WORD_1 src1_sel:DWORD
	v_fma_f16 v37, v37, v54, -v41
	v_mul_f16_sdwa v41, v38, v55 dst_sel:DWORD dst_unused:UNUSED_PAD src0_sel:WORD_1 src1_sel:DWORD
	v_mul_f16_sdwa v44, v38, v50 dst_sel:DWORD dst_unused:UNUSED_PAD src0_sel:WORD_1 src1_sel:DWORD
	v_add_f16_e32 v45, v56, v28
	s_waitcnt lgkmcnt(0)
	v_lshrrev_b32_e32 v2, 16, v0
	v_fma_f16 v41, v38, v50, v41
	v_fma_f16 v38, v38, v55, -v44
	v_add_f16_e32 v44, v0, v56
	v_fma_f16 v0, v45, -0.5, v0
	v_sub_f16_e32 v45, v7, v8
	s_mov_b32 s2, 0xbaee
	s_movk_i32 s3, 0x3aee
	v_fma_f16 v47, v45, s2, v0
	v_fma_f16 v0, v45, s3, v0
	v_add_f16_e32 v45, v2, v7
	v_add_f16_e32 v7, v7, v8
	ds_read2_b32 v[12:13], v63 offset0:136 offset1:204
	v_add_f16_e32 v44, v44, v28
	v_fma_f16 v2, v7, -0.5, v2
	v_sub_f16_e32 v7, v56, v28
	v_add_f16_e32 v28, v29, v31
	v_lshrrev_b32_e32 v43, 16, v1
	v_add_f16_e32 v45, v45, v8
	v_fma_f16 v8, v7, s3, v2
	v_fma_f16 v2, v7, s2, v2
	v_add_f16_e32 v7, v1, v29
	v_fma_f16 v1, v28, -0.5, v1
	v_sub_f16_e32 v28, v10, v9
	v_fma_f16 v48, v28, s2, v1
	v_fma_f16 v1, v28, s3, v1
	v_add_f16_e32 v28, v43, v10
	v_add_f16_e32 v28, v28, v9
	;; [unrolled: 1-line block ×4, first 2 shown]
	v_fma_f16 v9, v9, -0.5, v43
	v_sub_f16_e32 v10, v29, v31
	v_add_f16_e32 v31, v32, v33
	s_waitcnt lgkmcnt(0)
	v_lshrrev_b32_e32 v46, 16, v12
	v_fma_f16 v29, v10, s3, v9
	v_fma_f16 v9, v10, s2, v9
	v_add_f16_e32 v10, v12, v32
	v_fma_f16 v12, v31, -0.5, v12
	v_sub_f16_e32 v31, v11, v14
	v_fma_f16 v43, v31, s2, v12
	v_fma_f16 v12, v31, s3, v12
	v_add_f16_e32 v31, v46, v11
	v_add_f16_e32 v11, v11, v14
	v_add_f16_e32 v10, v10, v33
	v_add_f16_e32 v31, v31, v14
	v_fma_f16 v11, v11, -0.5, v46
	v_sub_f16_e32 v14, v32, v33
	v_add_f16_e32 v33, v34, v40
	v_lshrrev_b32_e32 v49, 16, v13
	v_fma_f16 v32, v14, s3, v11
	v_fma_f16 v11, v14, s2, v11
	v_add_f16_e32 v14, v13, v34
	v_fma_f16 v13, v33, -0.5, v13
	v_sub_f16_e32 v33, v35, v15
	v_fma_f16 v46, v33, s2, v13
	v_fma_f16 v13, v33, s3, v13
	v_add_f16_e32 v33, v49, v35
	v_add_f16_e32 v33, v33, v15
	;; [unrolled: 1-line block ×4, first 2 shown]
	v_fma_f16 v15, v15, -0.5, v49
	v_sub_f16_e32 v34, v34, v40
	v_add_f16_e32 v40, v36, v41
	v_lshrrev_b32_e32 v53, 16, v6
	v_fma_f16 v35, v34, s3, v15
	v_fma_f16 v15, v34, s2, v15
	v_add_f16_e32 v34, v6, v36
	v_fma_f16 v6, v40, -0.5, v6
	v_sub_f16_e32 v40, v37, v38
	v_fma_f16 v49, v40, s2, v6
	v_fma_f16 v6, v40, s3, v6
	v_add_f16_e32 v40, v53, v37
	v_add_f16_e32 v37, v37, v38
	v_pack_b32_f16 v0, v0, v2
	v_pack_b32_f16 v2, v7, v28
	v_fma_f16 v37, v37, -0.5, v53
	v_sub_f16_e32 v36, v36, v41
	s_barrier
	ds_write2_b32 v63, v0, v2 offset0:136 offset1:204
	v_pack_b32_f16 v0, v48, v29
	v_pack_b32_f16 v1, v1, v9
	v_add_f16_e32 v40, v40, v38
	v_fma_f16 v38, v36, s3, v37
	v_fma_f16 v36, v36, s2, v37
	v_pack_b32_f16 v37, v44, v45
	v_pack_b32_f16 v8, v47, v8
	ds_write2_b32 v4, v0, v1 offset0:16 offset1:84
	v_pack_b32_f16 v0, v10, v31
	v_pack_b32_f16 v1, v43, v32
	v_add_u32_e32 v2, 0x400, v192
	ds_write2_b32 v63, v37, v8 offset1:68
	ds_write2_b32 v2, v0, v1 offset0:152 offset1:220
	v_pack_b32_f16 v0, v12, v11
	ds_write_b32 v192, v0 offset:2176
	v_pack_b32_f16 v0, v14, v33
	v_pack_b32_f16 v1, v46, v35
	v_add_u32_e32 v2, 0x800, v104
	v_add_f16_e32 v34, v34, v41
	ds_write2_b32 v2, v0, v1 offset0:100 offset1:168
	v_pack_b32_f16 v0, v13, v15
	ds_write_b32 v104, v0 offset:2992
	v_pack_b32_f16 v0, v34, v40
	v_pack_b32_f16 v1, v49, v38
	v_add_u32_e32 v2, 0xc00, v106
	ds_write2_b32 v2, v0, v1 offset0:48 offset1:116
	v_pack_b32_f16 v0, v6, v36
	ds_write_b32 v106, v0 offset:3808
	s_waitcnt lgkmcnt(0)
	s_barrier
	ds_read2_b32 v[0:1], v63 offset1:68
	ds_read2_b32 v[6:7], v63 offset0:136 offset1:204
	ds_read2_b32 v[8:9], v4 offset0:152 offset1:220
	;; [unrolled: 1-line block ×5, first 2 shown]
	s_waitcnt lgkmcnt(4)
	v_lshrrev_b32_e32 v28, 16, v7
	v_mul_f16_sdwa v48, v16, v28 dst_sel:DWORD dst_unused:UNUSED_PAD src0_sel:WORD_1 src1_sel:DWORD
	s_waitcnt lgkmcnt(3)
	v_lshrrev_b32_e32 v29, 16, v8
	v_fma_f16 v48, v16, v7, v48
	v_mul_f16_sdwa v7, v16, v7 dst_sel:DWORD dst_unused:UNUSED_PAD src0_sel:WORD_1 src1_sel:DWORD
	v_fma_f16 v7, v16, v28, -v7
	v_mul_f16_sdwa v16, v17, v29 dst_sel:DWORD dst_unused:UNUSED_PAD src0_sel:WORD_1 src1_sel:DWORD
	s_waitcnt lgkmcnt(2)
	v_lshrrev_b32_e32 v33, 16, v11
	v_fma_f16 v16, v17, v8, v16
	v_mul_f16_sdwa v8, v17, v8 dst_sel:DWORD dst_unused:UNUSED_PAD src0_sel:WORD_1 src1_sel:DWORD
	v_fma_f16 v8, v17, v29, -v8
	v_mul_f16_sdwa v17, v18, v33 dst_sel:DWORD dst_unused:UNUSED_PAD src0_sel:WORD_1 src1_sel:DWORD
	s_waitcnt lgkmcnt(1)
	v_lshrrev_b32_e32 v34, 16, v12
	v_fma_f16 v17, v18, v11, v17
	v_mul_f16_sdwa v11, v18, v11 dst_sel:DWORD dst_unused:UNUSED_PAD src0_sel:WORD_1 src1_sel:DWORD
	ds_read2_b32 v[31:32], v5 offset0:168 offset1:236
	v_fma_f16 v11, v18, v33, -v11
	v_mul_f16_sdwa v18, v19, v34 dst_sel:DWORD dst_unused:UNUSED_PAD src0_sel:WORD_1 src1_sel:DWORD
	s_waitcnt lgkmcnt(1)
	v_lshrrev_b32_e32 v36, 16, v14
	v_fma_f16 v18, v19, v12, v18
	v_mul_f16_sdwa v12, v19, v12 dst_sel:DWORD dst_unused:UNUSED_PAD src0_sel:WORD_1 src1_sel:DWORD
	v_fma_f16 v12, v19, v34, -v12
	v_mul_f16_sdwa v19, v20, v36 dst_sel:DWORD dst_unused:UNUSED_PAD src0_sel:WORD_1 src1_sel:DWORD
	v_lshrrev_b32_e32 v37, 16, v9
	v_fma_f16 v19, v20, v14, v19
	v_mul_f16_sdwa v14, v20, v14 dst_sel:DWORD dst_unused:UNUSED_PAD src0_sel:WORD_1 src1_sel:DWORD
	v_fma_f16 v14, v20, v36, -v14
	v_mul_f16_sdwa v20, v21, v37 dst_sel:DWORD dst_unused:UNUSED_PAD src0_sel:WORD_1 src1_sel:DWORD
	s_waitcnt lgkmcnt(0)
	v_lshrrev_b32_e32 v38, 16, v31
	v_fma_f16 v20, v21, v9, v20
	v_mul_f16_sdwa v9, v21, v9 dst_sel:DWORD dst_unused:UNUSED_PAD src0_sel:WORD_1 src1_sel:DWORD
	v_lshrrev_b32_e32 v40, 16, v13
	v_fma_f16 v9, v21, v37, -v9
	v_mul_f16_sdwa v21, v22, v38 dst_sel:DWORD dst_unused:UNUSED_PAD src0_sel:WORD_1 src1_sel:DWORD
	v_mul_f16_sdwa v28, v22, v31 dst_sel:DWORD dst_unused:UNUSED_PAD src0_sel:WORD_1 src1_sel:DWORD
	v_fma_f16 v21, v22, v31, v21
	v_fma_f16 v22, v22, v38, -v28
	v_mul_f16_sdwa v28, v23, v40 dst_sel:DWORD dst_unused:UNUSED_PAD src0_sel:WORD_1 src1_sel:DWORD
	v_lshrrev_b32_e32 v44, 16, v15
	v_fma_f16 v28, v23, v13, v28
	v_mul_f16_sdwa v13, v23, v13 dst_sel:DWORD dst_unused:UNUSED_PAD src0_sel:WORD_1 src1_sel:DWORD
	v_fma_f16 v13, v23, v40, -v13
	v_mul_f16_sdwa v23, v24, v44 dst_sel:DWORD dst_unused:UNUSED_PAD src0_sel:WORD_1 src1_sel:DWORD
	v_lshrrev_b32_e32 v45, 16, v10
	v_fma_f16 v23, v24, v15, v23
	v_mul_f16_sdwa v15, v24, v15 dst_sel:DWORD dst_unused:UNUSED_PAD src0_sel:WORD_1 src1_sel:DWORD
	ds_read_b32 v41, v63 offset:3808
	v_fma_f16 v15, v24, v44, -v15
	v_mul_f16_sdwa v24, v25, v45 dst_sel:DWORD dst_unused:UNUSED_PAD src0_sel:WORD_1 src1_sel:DWORD
	v_lshrrev_b32_e32 v46, 16, v32
	v_fma_f16 v24, v25, v10, v24
	v_mul_f16_sdwa v10, v25, v10 dst_sel:DWORD dst_unused:UNUSED_PAD src0_sel:WORD_1 src1_sel:DWORD
	v_fma_f16 v10, v25, v45, -v10
	v_mul_f16_sdwa v25, v26, v46 dst_sel:DWORD dst_unused:UNUSED_PAD src0_sel:WORD_1 src1_sel:DWORD
	v_fma_f16 v25, v26, v32, v25
	v_mul_f16_sdwa v29, v26, v32 dst_sel:DWORD dst_unused:UNUSED_PAD src0_sel:WORD_1 src1_sel:DWORD
	v_add_f16_e32 v32, v16, v17
	v_fma_f16 v32, v32, -0.5, v0
	v_sub_f16_e32 v33, v7, v12
	s_mov_b32 s2, 0xbb9c
	s_movk_i32 s5, 0x3b9c
	s_waitcnt lgkmcnt(0)
	v_lshrrev_b32_e32 v47, 16, v41
	v_fma_f16 v34, v33, s2, v32
	v_sub_f16_e32 v36, v8, v11
	s_mov_b32 s3, 0xb8b4
	v_sub_f16_e32 v37, v48, v16
	v_sub_f16_e32 v38, v18, v17
	v_fma_f16 v32, v33, s5, v32
	s_movk_i32 s12, 0x38b4
	v_fma_f16 v26, v26, v46, -v29
	v_mul_f16_sdwa v29, v27, v47 dst_sel:DWORD dst_unused:UNUSED_PAD src0_sel:WORD_1 src1_sel:DWORD
	v_mul_f16_sdwa v31, v27, v41 dst_sel:DWORD dst_unused:UNUSED_PAD src0_sel:WORD_1 src1_sel:DWORD
	v_fma_f16 v34, v36, s3, v34
	v_add_f16_e32 v37, v37, v38
	s_movk_i32 s4, 0x34f2
	v_fma_f16 v32, v36, s12, v32
	v_fma_f16 v29, v27, v41, v29
	v_fma_f16 v27, v27, v47, -v31
	v_add_f16_e32 v31, v0, v48
	v_fma_f16 v34, v37, s4, v34
	v_fma_f16 v32, v37, s4, v32
	v_add_f16_e32 v37, v48, v18
	v_lshrrev_b32_e32 v2, 16, v0
	v_add_f16_e32 v31, v31, v16
	v_fma_f16 v0, v37, -0.5, v0
	v_add_f16_e32 v31, v31, v17
	v_fma_f16 v37, v36, s5, v0
	v_sub_f16_e32 v38, v16, v48
	v_sub_f16_e32 v40, v17, v18
	v_fma_f16 v0, v36, s2, v0
	v_add_f16_e32 v36, v8, v11
	v_add_f16_e32 v31, v31, v18
	v_fma_f16 v37, v33, s3, v37
	v_add_f16_e32 v38, v38, v40
	v_fma_f16 v0, v33, s12, v0
	v_fma_f16 v36, v36, -0.5, v2
	v_sub_f16_e32 v18, v48, v18
	v_fma_f16 v37, v38, s4, v37
	v_fma_f16 v0, v38, s4, v0
	v_fma_f16 v38, v18, s5, v36
	v_sub_f16_e32 v16, v16, v17
	v_fma_f16 v17, v16, s12, v38
	v_sub_f16_e32 v38, v7, v8
	v_sub_f16_e32 v40, v12, v11
	v_fma_f16 v36, v18, s2, v36
	v_add_f16_e32 v38, v38, v40
	v_fma_f16 v36, v16, s3, v36
	v_add_f16_e32 v33, v2, v7
	v_fma_f16 v17, v38, s4, v17
	v_fma_f16 v36, v38, s4, v36
	v_add_f16_e32 v38, v7, v12
	v_add_f16_e32 v33, v33, v8
	v_fma_f16 v2, v38, -0.5, v2
	v_add_f16_e32 v33, v33, v11
	v_fma_f16 v38, v16, s2, v2
	v_sub_f16_e32 v7, v8, v7
	v_sub_f16_e32 v8, v11, v12
	v_add_f16_e32 v11, v20, v21
	v_add_f16_e32 v33, v33, v12
	v_fma_f16 v38, v18, s12, v38
	v_add_f16_e32 v7, v7, v8
	v_fma_f16 v2, v16, s5, v2
	v_fma_f16 v11, v11, -0.5, v1
	v_sub_f16_e32 v12, v14, v13
	v_fma_f16 v8, v7, s4, v38
	v_fma_f16 v2, v18, s3, v2
	;; [unrolled: 1-line block ×3, first 2 shown]
	v_sub_f16_e32 v18, v9, v22
	v_sub_f16_e32 v38, v19, v20
	;; [unrolled: 1-line block ×3, first 2 shown]
	v_fma_f16 v11, v12, s5, v11
	v_fma_f16 v16, v18, s3, v16
	v_add_f16_e32 v38, v38, v40
	v_fma_f16 v11, v18, s12, v11
	v_fma_f16 v16, v38, s4, v16
	;; [unrolled: 1-line block ×3, first 2 shown]
	v_add_f16_e32 v38, v19, v28
	v_lshrrev_b32_e32 v35, 16, v1
	v_fma_f16 v2, v7, s4, v2
	v_add_f16_e32 v7, v1, v19
	v_fma_f16 v1, v38, -0.5, v1
	v_add_f16_e32 v7, v7, v20
	v_fma_f16 v38, v18, s5, v1
	v_fma_f16 v1, v18, s2, v1
	v_add_f16_e32 v18, v9, v22
	v_add_f16_e32 v7, v7, v21
	v_sub_f16_e32 v40, v20, v19
	v_sub_f16_e32 v41, v21, v28
	v_fma_f16 v18, v18, -0.5, v35
	v_sub_f16_e32 v19, v19, v28
	v_add_f16_e32 v7, v7, v28
	v_fma_f16 v38, v12, s3, v38
	v_add_f16_e32 v40, v40, v41
	v_fma_f16 v1, v12, s12, v1
	v_fma_f16 v28, v19, s5, v18
	v_sub_f16_e32 v20, v20, v21
	v_fma_f16 v38, v40, s4, v38
	v_fma_f16 v1, v40, s4, v1
	;; [unrolled: 1-line block ×3, first 2 shown]
	v_sub_f16_e32 v28, v14, v9
	v_sub_f16_e32 v40, v13, v22
	v_fma_f16 v18, v19, s2, v18
	v_add_f16_e32 v28, v28, v40
	v_fma_f16 v18, v20, s3, v18
	v_add_f16_e32 v12, v35, v14
	v_fma_f16 v21, v28, s4, v21
	v_fma_f16 v18, v28, s4, v18
	v_add_f16_e32 v28, v14, v13
	v_add_f16_e32 v12, v12, v9
	v_fma_f16 v28, v28, -0.5, v35
	v_add_f16_e32 v12, v12, v22
	v_fma_f16 v35, v20, s2, v28
	v_sub_f16_e32 v9, v9, v14
	v_fma_f16 v14, v20, s5, v28
	v_add_f16_e32 v12, v12, v13
	v_fma_f16 v35, v19, s12, v35
	v_sub_f16_e32 v13, v22, v13
	v_fma_f16 v14, v19, s3, v14
	v_add_f16_e32 v19, v24, v25
	v_add_f16_e32 v9, v9, v13
	v_fma_f16 v19, v19, -0.5, v6
	v_sub_f16_e32 v20, v15, v27
	v_fma_f16 v13, v9, s4, v35
	v_fma_f16 v22, v20, s2, v19
	v_sub_f16_e32 v28, v10, v26
	v_sub_f16_e32 v35, v23, v24
	;; [unrolled: 1-line block ×3, first 2 shown]
	v_fma_f16 v19, v20, s5, v19
	v_fma_f16 v22, v28, s3, v22
	v_add_f16_e32 v35, v35, v40
	v_fma_f16 v19, v28, s12, v19
	v_fma_f16 v22, v35, s4, v22
	;; [unrolled: 1-line block ×3, first 2 shown]
	v_add_f16_e32 v35, v23, v29
	v_lshrrev_b32_e32 v43, 16, v6
	v_fma_f16 v9, v9, s4, v14
	v_add_f16_e32 v14, v6, v23
	v_fma_f16 v6, v35, -0.5, v6
	v_add_f16_e32 v14, v14, v24
	v_fma_f16 v35, v28, s5, v6
	v_fma_f16 v6, v28, s2, v6
	v_add_f16_e32 v28, v10, v26
	v_add_f16_e32 v14, v14, v25
	v_sub_f16_e32 v40, v24, v23
	v_sub_f16_e32 v41, v25, v29
	v_fma_f16 v28, v28, -0.5, v43
	v_sub_f16_e32 v23, v23, v29
	v_add_f16_e32 v14, v14, v29
	v_fma_f16 v35, v20, s3, v35
	v_add_f16_e32 v40, v40, v41
	v_fma_f16 v6, v20, s12, v6
	v_fma_f16 v29, v23, s5, v28
	v_sub_f16_e32 v24, v24, v25
	v_fma_f16 v35, v40, s4, v35
	v_fma_f16 v6, v40, s4, v6
	;; [unrolled: 1-line block ×3, first 2 shown]
	v_sub_f16_e32 v29, v15, v10
	v_sub_f16_e32 v40, v27, v26
	v_fma_f16 v28, v23, s2, v28
	v_add_f16_e32 v29, v29, v40
	v_fma_f16 v28, v24, s3, v28
	v_fma_f16 v25, v29, s4, v25
	;; [unrolled: 1-line block ×3, first 2 shown]
	v_add_f16_e32 v29, v15, v27
	v_add_f16_e32 v20, v43, v15
	v_fma_f16 v29, v29, -0.5, v43
	v_add_f16_e32 v20, v20, v10
	v_fma_f16 v40, v24, s2, v29
	v_sub_f16_e32 v10, v10, v15
	v_sub_f16_e32 v15, v26, v27
	v_fma_f16 v24, v24, s5, v29
	v_fma_f16 v40, v23, s12, v40
	v_add_f16_e32 v10, v10, v15
	v_fma_f16 v23, v23, s3, v24
	v_fma_f16 v15, v10, s4, v40
	;; [unrolled: 1-line block ×3, first 2 shown]
	v_pack_b32_f16 v23, v31, v33
	ds_write_b32 v63, v23
	v_pack_b32_f16 v17, v34, v17
	v_pack_b32_f16 v8, v37, v8
	v_add_u32_e32 v23, 0x300, v63
	ds_write2_b32 v23, v17, v8 offset0:12 offset1:216
	v_pack_b32_f16 v0, v0, v2
	v_pack_b32_f16 v2, v32, v36
	v_add_u32_e32 v8, 0x900, v64
	v_add_f16_e32 v20, v20, v26
	ds_write2_b32 v8, v0, v2 offset0:36 offset1:240
	v_pack_b32_f16 v0, v7, v12
	v_pack_b32_f16 v2, v16, v21
	v_pack_b32_f16 v7, v38, v13
	v_add_u32_e32 v8, 0x300, v42
	v_add_f16_e32 v20, v20, v27
	ds_write2_b32 v8, v2, v7 offset0:12 offset1:216
	v_pack_b32_f16 v1, v1, v9
	v_pack_b32_f16 v2, v11, v18
	v_add_u32_e32 v7, 0x900, v42
	ds_write2_b32 v7, v1, v2 offset0:36 offset1:240
	v_pack_b32_f16 v1, v14, v20
	ds_write2_b32 v63, v0, v1 offset0:68 offset1:136
	v_pack_b32_f16 v0, v22, v25
	v_pack_b32_f16 v1, v35, v15
	v_add_u32_e32 v2, 0x300, v39
	ds_write2_b32 v2, v0, v1 offset0:12 offset1:216
	v_pack_b32_f16 v0, v6, v10
	v_pack_b32_f16 v1, v19, v28
	v_add_u32_e32 v2, 0x900, v39
	ds_write2_b32 v2, v0, v1 offset0:36 offset1:240
	s_waitcnt lgkmcnt(0)
	s_barrier
	ds_read2_b32 v[6:7], v63 offset1:68
	s_mov_b32 s12, 0x10101010
	s_mov_b32 s13, 0x3f501010
	v_mad_u64_u32 v[8:9], s[2:3], s10, v30, 0
	s_waitcnt lgkmcnt(0)
	v_lshrrev_b32_e32 v11, 16, v6
	v_mul_f16_sdwa v0, v78, v11 dst_sel:DWORD dst_unused:UNUSED_PAD src0_sel:WORD_1 src1_sel:DWORD
	v_fma_f16 v0, v78, v6, v0
	v_cvt_f32_f16_e32 v0, v0
	s_movk_i32 s15, 0x1ff
	v_mov_b32_e32 v2, v9
	v_mad_u64_u32 v[9:10], s[2:3], s11, v30, v[2:3]
	v_cvt_f64_f32_e32 v[0:1], v0
	s_movk_i32 s10, 0xffe
	v_mul_f16_sdwa v6, v78, v6 dst_sel:DWORD dst_unused:UNUSED_PAD src0_sel:WORD_1 src1_sel:DWORD
	v_fma_f16 v6, v78, v11, -v6
	v_mul_f64 v[0:1], v[0:1], s[12:13]
	v_cvt_f32_f16_e32 v6, v6
	s_movk_i32 s11, 0x40f
	s_mov_b32 s14, 0x8000
	v_lshlrev_b64 v[8:9], 2, v[8:9]
	v_and_or_b32 v0, v1, s15, v0
	v_cmp_ne_u32_e32 vcc, 0, v0
	v_cndmask_b32_e64 v0, 0, 1, vcc
	v_lshrrev_b32_e32 v2, 8, v1
	v_bfe_u32 v10, v1, 20, 11
	v_and_or_b32 v0, v2, s10, v0
	v_sub_u32_e32 v12, 0x3f1, v10
	v_or_b32_e32 v2, 0x1000, v0
	v_med3_i32 v12, v12, 0, 13
	v_lshrrev_b32_e32 v13, v12, v2
	v_lshlrev_b32_e32 v12, v12, v13
	v_cmp_ne_u32_e32 vcc, v12, v2
	v_cndmask_b32_e64 v2, 0, 1, vcc
	v_add_u32_e32 v12, 0xfffffc10, v10
	v_or_b32_e32 v2, v13, v2
	v_lshl_or_b32 v10, v12, 12, v0
	v_cmp_gt_i32_e32 vcc, 1, v12
	v_cndmask_b32_e32 v2, v10, v2, vcc
	v_and_b32_e32 v10, 7, v2
	v_cmp_lt_i32_e32 vcc, 5, v10
	v_cmp_eq_u32_e64 s[2:3], 3, v10
	v_cvt_f64_f32_e32 v[10:11], v6
	v_lshrrev_b32_e32 v2, 2, v2
	s_or_b64 vcc, s[2:3], vcc
	v_addc_co_u32_e32 v13, vcc, 0, v2, vcc
	v_mul_f64 v[10:11], v[10:11], s[12:13]
	v_mov_b32_e32 v2, 0x7c00
	v_cmp_gt_i32_e32 vcc, 31, v12
	v_cndmask_b32_e32 v6, v2, v13, vcc
	v_cmp_ne_u32_e32 vcc, 0, v0
	v_cndmask_b32_e64 v0, 0, 1, vcc
	v_lshl_or_b32 v0, v0, 9, v2
	v_cmp_eq_u32_e32 vcc, s11, v12
	v_cndmask_b32_e32 v0, v6, v0, vcc
	v_lshrrev_b32_e32 v1, 16, v1
	v_and_or_b32 v14, v1, s14, v0
	v_and_or_b32 v0, v11, s15, v10
	v_cmp_ne_u32_e32 vcc, 0, v0
	v_cndmask_b32_e64 v0, 0, 1, vcc
	v_lshrrev_b32_e32 v1, 8, v11
	v_bfe_u32 v6, v11, 20, 11
	v_and_or_b32 v0, v1, s10, v0
	v_sub_u32_e32 v10, 0x3f1, v6
	v_or_b32_e32 v1, 0x1000, v0
	v_med3_i32 v10, v10, 0, 13
	v_lshrrev_b32_e32 v12, v10, v1
	v_lshlrev_b32_e32 v10, v10, v12
	v_cmp_ne_u32_e32 vcc, v10, v1
	v_cndmask_b32_e64 v1, 0, 1, vcc
	v_add_u32_e32 v6, 0xfffffc10, v6
	v_or_b32_e32 v1, v12, v1
	v_lshl_or_b32 v10, v6, 12, v0
	v_cmp_gt_i32_e32 vcc, 1, v6
	v_cndmask_b32_e32 v1, v10, v1, vcc
	v_and_b32_e32 v10, 7, v1
	v_cmp_lt_i32_e32 vcc, 5, v10
	v_cmp_eq_u32_e64 s[2:3], 3, v10
	v_lshrrev_b32_e32 v1, 2, v1
	s_or_b64 vcc, s[2:3], vcc
	v_addc_co_u32_e32 v1, vcc, 0, v1, vcc
	v_cmp_gt_i32_e32 vcc, 31, v6
	v_cndmask_b32_e32 v1, v2, v1, vcc
	v_cmp_ne_u32_e32 vcc, 0, v0
	v_cndmask_b32_e64 v0, 0, 1, vcc
	v_lshl_or_b32 v0, v0, 9, v2
	v_cmp_eq_u32_e32 vcc, s11, v6
	v_mad_u64_u32 v[12:13], s[2:3], s8, v76, 0
	v_cndmask_b32_e32 v15, v1, v0, vcc
	ds_read2_b32 v[0:1], v4 offset0:152 offset1:254
	v_mov_b32_e32 v6, v13
	v_lshrrev_b32_e32 v16, 16, v11
	v_mad_u64_u32 v[10:11], s[2:3], s9, v76, v[6:7]
	s_waitcnt lgkmcnt(0)
	v_lshrrev_b32_e32 v6, 16, v1
	v_mul_f16_sdwa v11, v77, v6 dst_sel:DWORD dst_unused:UNUSED_PAD src0_sel:WORD_1 src1_sel:DWORD
	v_fma_f16 v11, v77, v1, v11
	v_cvt_f32_f16_e32 v11, v11
	v_mov_b32_e32 v13, v10
	v_and_or_b32 v15, v16, s14, v15
	v_and_b32_e32 v14, 0xffff, v14
	v_cvt_f64_f32_e32 v[10:11], v11
	v_lshl_or_b32 v14, v15, 16, v14
	v_mov_b32_e32 v15, s7
	v_add_co_u32_e32 v16, vcc, s6, v8
	v_mul_f64 v[10:11], v[10:11], s[12:13]
	v_addc_co_u32_e32 v15, vcc, v15, v9, vcc
	v_lshlrev_b64 v[8:9], 2, v[12:13]
	v_mul_f16_sdwa v1, v77, v1 dst_sel:DWORD dst_unused:UNUSED_PAD src0_sel:WORD_1 src1_sel:DWORD
	v_add_co_u32_e32 v8, vcc, v16, v8
	v_addc_co_u32_e32 v9, vcc, v15, v9, vcc
	v_and_or_b32 v10, v11, s15, v10
	v_cmp_ne_u32_e32 vcc, 0, v10
	v_cndmask_b32_e64 v10, 0, 1, vcc
	v_lshrrev_b32_e32 v12, 8, v11
	v_bfe_u32 v13, v11, 20, 11
	global_store_dword v[8:9], v14, off
	v_and_or_b32 v10, v12, s10, v10
	v_sub_u32_e32 v14, 0x3f1, v13
	v_or_b32_e32 v12, 0x1000, v10
	v_med3_i32 v14, v14, 0, 13
	v_lshrrev_b32_e32 v15, v14, v12
	v_lshlrev_b32_e32 v14, v14, v15
	v_cmp_ne_u32_e32 vcc, v14, v12
	v_fma_f16 v1, v77, v6, -v1
	v_cndmask_b32_e64 v12, 0, 1, vcc
	v_add_u32_e32 v14, 0xfffffc10, v13
	v_cvt_f32_f16_e32 v1, v1
	v_or_b32_e32 v12, v15, v12
	v_lshl_or_b32 v13, v14, 12, v10
	v_cmp_gt_i32_e32 vcc, 1, v14
	v_cndmask_b32_e32 v12, v13, v12, vcc
	v_and_b32_e32 v13, 7, v12
	v_cmp_lt_i32_e32 vcc, 5, v13
	v_cmp_eq_u32_e64 s[2:3], 3, v13
	v_lshrrev_b32_e32 v6, 2, v12
	v_cvt_f64_f32_e32 v[12:13], v1
	s_or_b64 vcc, s[2:3], vcc
	v_addc_co_u32_e32 v1, vcc, 0, v6, vcc
	v_mul_f64 v[12:13], v[12:13], s[12:13]
	v_cmp_gt_i32_e32 vcc, 31, v14
	v_cndmask_b32_e32 v1, v2, v1, vcc
	v_cmp_ne_u32_e32 vcc, 0, v10
	v_cndmask_b32_e64 v6, 0, 1, vcc
	v_lshl_or_b32 v6, v6, 9, v2
	v_cmp_eq_u32_e32 vcc, s11, v14
	v_cndmask_b32_e32 v1, v1, v6, vcc
	v_lshrrev_b32_e32 v6, 16, v11
	v_and_or_b32 v1, v6, s14, v1
	v_and_or_b32 v6, v13, s15, v12
	v_cmp_ne_u32_e32 vcc, 0, v6
	v_cndmask_b32_e64 v6, 0, 1, vcc
	v_lshrrev_b32_e32 v10, 8, v13
	v_bfe_u32 v11, v13, 20, 11
	v_and_or_b32 v6, v10, s10, v6
	v_sub_u32_e32 v12, 0x3f1, v11
	v_or_b32_e32 v10, 0x1000, v6
	v_med3_i32 v12, v12, 0, 13
	v_lshrrev_b32_e32 v14, v12, v10
	v_lshlrev_b32_e32 v12, v12, v14
	v_cmp_ne_u32_e32 vcc, v12, v10
	v_cndmask_b32_e64 v10, 0, 1, vcc
	v_add_u32_e32 v11, 0xfffffc10, v11
	v_or_b32_e32 v10, v14, v10
	v_lshl_or_b32 v12, v11, 12, v6
	v_cmp_gt_i32_e32 vcc, 1, v11
	v_cndmask_b32_e32 v10, v12, v10, vcc
	v_and_b32_e32 v12, 7, v10
	v_cmp_lt_i32_e32 vcc, 5, v12
	v_cmp_eq_u32_e64 s[2:3], 3, v12
	v_lshrrev_b32_e32 v10, 2, v10
	s_or_b64 vcc, s[2:3], vcc
	v_addc_co_u32_e32 v10, vcc, 0, v10, vcc
	v_cmp_gt_i32_e32 vcc, 31, v11
	v_cndmask_b32_e32 v10, v2, v10, vcc
	v_cmp_ne_u32_e32 vcc, 0, v6
	v_cndmask_b32_e64 v6, 0, 1, vcc
	v_lshl_or_b32 v6, v6, 9, v2
	v_cmp_eq_u32_e32 vcc, s11, v11
	v_cndmask_b32_e32 v6, v10, v6, vcc
	v_lshrrev_b32_e32 v10, 16, v13
	v_lshrrev_b32_e32 v12, 16, v7
	v_and_or_b32 v6, v10, s14, v6
	v_mul_f16_sdwa v10, v75, v12 dst_sel:DWORD dst_unused:UNUSED_PAD src0_sel:WORD_1 src1_sel:DWORD
	v_fma_f16 v10, v75, v7, v10
	v_cvt_f32_f16_e32 v10, v10
	s_mul_i32 s2, s9, 0x1fe
	s_mul_hi_u32 s3, s8, 0x1fe
	s_add_i32 s3, s3, s2
	v_cvt_f64_f32_e32 v[10:11], v10
	s_mul_i32 s2, s8, 0x1fe
	v_and_b32_e32 v1, 0xffff, v1
	s_lshl_b64 s[6:7], s[2:3], 2
	v_mul_f64 v[10:11], v[10:11], s[12:13]
	v_lshl_or_b32 v6, v6, 16, v1
	v_mov_b32_e32 v1, s7
	v_add_co_u32_e32 v8, vcc, s6, v8
	v_addc_co_u32_e32 v9, vcc, v9, v1, vcc
	global_store_dword v[8:9], v6, off
	v_and_or_b32 v6, v11, s15, v10
	v_cmp_ne_u32_e32 vcc, 0, v6
	v_cndmask_b32_e64 v6, 0, 1, vcc
	v_lshrrev_b32_e32 v10, 8, v11
	v_bfe_u32 v13, v11, 20, 11
	v_and_or_b32 v10, v10, s10, v6
	v_sub_u32_e32 v14, 0x3f1, v13
	v_or_b32_e32 v6, 0x1000, v10
	v_med3_i32 v14, v14, 0, 13
	v_lshrrev_b32_e32 v15, v14, v6
	v_mul_f16_sdwa v7, v75, v7 dst_sel:DWORD dst_unused:UNUSED_PAD src0_sel:WORD_1 src1_sel:DWORD
	v_lshlrev_b32_e32 v14, v14, v15
	v_fma_f16 v7, v75, v12, -v7
	v_cmp_ne_u32_e32 vcc, v14, v6
	v_cvt_f32_f16_e32 v7, v7
	v_cndmask_b32_e64 v6, 0, 1, vcc
	v_add_u32_e32 v13, 0xfffffc10, v13
	v_or_b32_e32 v6, v15, v6
	v_lshl_or_b32 v14, v13, 12, v10
	v_cmp_gt_i32_e32 vcc, 1, v13
	v_cndmask_b32_e32 v6, v14, v6, vcc
	v_and_b32_e32 v14, 7, v6
	v_lshrrev_b32_e32 v12, 2, v6
	v_cvt_f64_f32_e32 v[6:7], v7
	v_cmp_lt_i32_e32 vcc, 5, v14
	v_cmp_eq_u32_e64 s[2:3], 3, v14
	s_or_b64 vcc, s[2:3], vcc
	v_mul_f64 v[6:7], v[6:7], s[12:13]
	v_addc_co_u32_e32 v12, vcc, 0, v12, vcc
	v_cmp_gt_i32_e32 vcc, 31, v13
	v_cndmask_b32_e32 v12, v2, v12, vcc
	v_cmp_ne_u32_e32 vcc, 0, v10
	v_cndmask_b32_e64 v10, 0, 1, vcc
	v_lshl_or_b32 v10, v10, 9, v2
	v_cmp_eq_u32_e32 vcc, s11, v13
	v_and_or_b32 v6, v7, s15, v6
	v_cndmask_b32_e32 v10, v12, v10, vcc
	v_lshrrev_b32_e32 v11, 16, v11
	v_cmp_ne_u32_e32 vcc, 0, v6
	v_and_or_b32 v12, v11, s14, v10
	v_cndmask_b32_e64 v6, 0, 1, vcc
	v_lshrrev_b32_e32 v10, 8, v7
	v_bfe_u32 v11, v7, 20, 11
	v_and_or_b32 v6, v10, s10, v6
	v_sub_u32_e32 v13, 0x3f1, v11
	v_or_b32_e32 v10, 0x1000, v6
	v_med3_i32 v13, v13, 0, 13
	v_lshrrev_b32_e32 v14, v13, v10
	v_lshlrev_b32_e32 v13, v13, v14
	v_cmp_ne_u32_e32 vcc, v13, v10
	v_cndmask_b32_e64 v10, 0, 1, vcc
	v_add_u32_e32 v13, 0xfffffc10, v11
	v_or_b32_e32 v10, v14, v10
	v_lshl_or_b32 v11, v13, 12, v6
	v_cmp_gt_i32_e32 vcc, 1, v13
	v_cndmask_b32_e32 v10, v11, v10, vcc
	v_and_b32_e32 v11, 7, v10
	v_cmp_lt_i32_e32 vcc, 5, v11
	v_cmp_eq_u32_e64 s[2:3], 3, v11
	v_lshrrev_b32_e32 v10, 2, v10
	s_or_b64 vcc, s[2:3], vcc
	v_addc_co_u32_e32 v10, vcc, 0, v10, vcc
	v_cmp_gt_i32_e32 vcc, 31, v13
	v_cndmask_b32_e32 v14, v2, v10, vcc
	ds_read2_b32 v[10:11], v5 offset0:66 offset1:134
	v_cmp_ne_u32_e32 vcc, 0, v6
	v_cndmask_b32_e64 v6, 0, 1, vcc
	v_lshl_or_b32 v6, v6, 9, v2
	v_cmp_eq_u32_e32 vcc, s11, v13
	v_cndmask_b32_e32 v5, v14, v6, vcc
	v_lshrrev_b32_e32 v6, 16, v7
	s_waitcnt lgkmcnt(0)
	v_lshrrev_b32_e32 v13, 16, v10
	v_and_or_b32 v7, v6, s14, v5
	v_mul_f16_sdwa v5, v74, v13 dst_sel:DWORD dst_unused:UNUSED_PAD src0_sel:WORD_1 src1_sel:DWORD
	v_fma_f16 v5, v74, v10, v5
	v_cvt_f32_f16_e32 v5, v5
	v_and_b32_e32 v12, 0xffff, v12
	v_lshl_or_b32 v12, v7, 16, v12
	s_mul_hi_u32 s3, s8, 0xfffffe46
	v_cvt_f64_f32_e32 v[5:6], v5
	s_mul_i32 s2, s9, 0xfffffe46
	s_sub_i32 s3, s3, s8
	s_add_i32 s3, s3, s2
	v_mul_f64 v[6:7], v[5:6], s[12:13]
	s_mul_i32 s2, s8, 0xfffffe46
	s_lshl_b64 s[4:5], s[2:3], 2
	v_mov_b32_e32 v5, s5
	v_add_co_u32_e32 v8, vcc, s4, v8
	v_addc_co_u32_e32 v9, vcc, v9, v5, vcc
	v_and_or_b32 v6, v7, s15, v6
	v_cmp_ne_u32_e32 vcc, 0, v6
	global_store_dword v[8:9], v12, off
	v_cndmask_b32_e64 v6, 0, 1, vcc
	v_lshrrev_b32_e32 v12, 8, v7
	v_bfe_u32 v14, v7, 20, 11
	v_and_or_b32 v6, v12, s10, v6
	v_sub_u32_e32 v15, 0x3f1, v14
	v_or_b32_e32 v12, 0x1000, v6
	v_med3_i32 v15, v15, 0, 13
	v_lshrrev_b32_e32 v16, v15, v12
	v_lshlrev_b32_e32 v15, v15, v16
	v_mul_f16_sdwa v10, v74, v10 dst_sel:DWORD dst_unused:UNUSED_PAD src0_sel:WORD_1 src1_sel:DWORD
	v_cmp_ne_u32_e32 vcc, v15, v12
	v_fma_f16 v10, v74, v13, -v10
	v_cndmask_b32_e64 v12, 0, 1, vcc
	v_add_u32_e32 v14, 0xfffffc10, v14
	v_cvt_f32_f16_e32 v10, v10
	v_or_b32_e32 v12, v16, v12
	v_lshl_or_b32 v15, v14, 12, v6
	v_cmp_gt_i32_e32 vcc, 1, v14
	v_cndmask_b32_e32 v12, v15, v12, vcc
	v_and_b32_e32 v15, 7, v12
	v_cmp_lt_i32_e32 vcc, 5, v15
	v_cmp_eq_u32_e64 s[2:3], 3, v15
	v_lshrrev_b32_e32 v15, 2, v12
	v_cvt_f64_f32_e32 v[12:13], v10
	s_or_b64 vcc, s[2:3], vcc
	v_addc_co_u32_e32 v10, vcc, 0, v15, vcc
	v_mul_f64 v[12:13], v[12:13], s[12:13]
	v_cmp_gt_i32_e32 vcc, 31, v14
	v_cndmask_b32_e32 v10, v2, v10, vcc
	v_cmp_ne_u32_e32 vcc, 0, v6
	v_cndmask_b32_e64 v6, 0, 1, vcc
	v_lshl_or_b32 v6, v6, 9, v2
	v_cmp_eq_u32_e32 vcc, s11, v14
	v_cndmask_b32_e32 v6, v10, v6, vcc
	v_lshrrev_b32_e32 v7, 16, v7
	v_and_or_b32 v10, v7, s14, v6
	v_and_or_b32 v6, v13, s15, v12
	v_cmp_ne_u32_e32 vcc, 0, v6
	v_cndmask_b32_e64 v6, 0, 1, vcc
	v_lshrrev_b32_e32 v7, 8, v13
	v_and_or_b32 v12, v7, s10, v6
	v_bfe_u32 v7, v13, 20, 11
	v_sub_u32_e32 v14, 0x3f1, v7
	v_or_b32_e32 v6, 0x1000, v12
	v_med3_i32 v14, v14, 0, 13
	v_lshrrev_b32_e32 v15, v14, v6
	v_lshlrev_b32_e32 v14, v14, v15
	v_cmp_ne_u32_e32 vcc, v14, v6
	v_cndmask_b32_e64 v6, 0, 1, vcc
	v_add_u32_e32 v16, 0xfffffc10, v7
	v_or_b32_e32 v6, v15, v6
	v_lshl_or_b32 v7, v16, 12, v12
	v_cmp_gt_i32_e32 vcc, 1, v16
	v_cndmask_b32_e32 v6, v7, v6, vcc
	v_and_b32_e32 v7, 7, v6
	v_cmp_lt_i32_e32 vcc, 5, v7
	v_cmp_eq_u32_e64 s[2:3], 3, v7
	v_lshrrev_b32_e32 v14, 2, v6
	ds_read2_b32 v[6:7], v63 offset0:136 offset1:204
	s_or_b64 vcc, s[2:3], vcc
	v_addc_co_u32_e32 v14, vcc, 0, v14, vcc
	v_cmp_gt_i32_e32 vcc, 31, v16
	s_waitcnt lgkmcnt(0)
	v_lshrrev_b32_e32 v18, 16, v6
	v_cndmask_b32_e32 v17, v2, v14, vcc
	v_mul_f16_sdwa v14, v73, v18 dst_sel:DWORD dst_unused:UNUSED_PAD src0_sel:WORD_1 src1_sel:DWORD
	v_fma_f16 v14, v73, v6, v14
	v_cvt_f32_f16_e32 v14, v14
	v_cmp_ne_u32_e32 vcc, 0, v12
	v_cndmask_b32_e64 v12, 0, 1, vcc
	v_lshl_or_b32 v12, v12, 9, v2
	v_cvt_f64_f32_e32 v[14:15], v14
	v_cmp_eq_u32_e32 vcc, s11, v16
	v_cndmask_b32_e32 v12, v17, v12, vcc
	v_lshrrev_b32_e32 v13, 16, v13
	v_and_or_b32 v16, v13, s14, v12
	v_mul_f64 v[12:13], v[14:15], s[12:13]
	v_and_b32_e32 v10, 0xffff, v10
	v_add_co_u32_e32 v8, vcc, s6, v8
	v_lshl_or_b32 v10, v16, 16, v10
	v_addc_co_u32_e32 v9, vcc, v9, v1, vcc
	global_store_dword v[8:9], v10, off
	v_and_or_b32 v10, v13, s15, v12
	v_cmp_ne_u32_e32 vcc, 0, v10
	v_cndmask_b32_e64 v10, 0, 1, vcc
	v_lshrrev_b32_e32 v12, 8, v13
	v_bfe_u32 v14, v13, 20, 11
	v_and_or_b32 v10, v12, s10, v10
	v_sub_u32_e32 v15, 0x3f1, v14
	v_or_b32_e32 v12, 0x1000, v10
	v_med3_i32 v15, v15, 0, 13
	v_lshrrev_b32_e32 v16, v15, v12
	v_lshlrev_b32_e32 v15, v15, v16
	v_cmp_ne_u32_e32 vcc, v15, v12
	v_mul_f16_sdwa v6, v73, v6 dst_sel:DWORD dst_unused:UNUSED_PAD src0_sel:WORD_1 src1_sel:DWORD
	v_cndmask_b32_e64 v12, 0, 1, vcc
	v_fma_f16 v6, v73, v18, -v6
	v_or_b32_e32 v12, v16, v12
	v_add_u32_e32 v16, 0xfffffc10, v14
	v_cvt_f32_f16_e32 v6, v6
	v_lshl_or_b32 v14, v16, 12, v10
	v_cmp_gt_i32_e32 vcc, 1, v16
	v_cndmask_b32_e32 v12, v14, v12, vcc
	v_and_b32_e32 v14, 7, v12
	v_cmp_lt_i32_e32 vcc, 5, v14
	v_cmp_eq_u32_e64 s[2:3], 3, v14
	v_cvt_f64_f32_e32 v[14:15], v6
	v_lshrrev_b32_e32 v12, 2, v12
	s_or_b64 vcc, s[2:3], vcc
	v_addc_co_u32_e32 v6, vcc, 0, v12, vcc
	v_mul_f64 v[14:15], v[14:15], s[12:13]
	v_cmp_gt_i32_e32 vcc, 31, v16
	v_cndmask_b32_e32 v6, v2, v6, vcc
	v_cmp_ne_u32_e32 vcc, 0, v10
	v_cndmask_b32_e64 v10, 0, 1, vcc
	v_lshl_or_b32 v10, v10, 9, v2
	v_cmp_eq_u32_e32 vcc, s11, v16
	v_cndmask_b32_e32 v6, v6, v10, vcc
	v_lshrrev_b32_e32 v10, 16, v13
	v_and_or_b32 v6, v10, s14, v6
	v_and_or_b32 v10, v15, s15, v14
	v_cmp_ne_u32_e32 vcc, 0, v10
	v_cndmask_b32_e64 v10, 0, 1, vcc
	v_lshrrev_b32_e32 v12, 8, v15
	v_bfe_u32 v13, v15, 20, 11
	v_and_or_b32 v10, v12, s10, v10
	v_sub_u32_e32 v14, 0x3f1, v13
	v_or_b32_e32 v12, 0x1000, v10
	v_med3_i32 v14, v14, 0, 13
	v_lshrrev_b32_e32 v16, v14, v12
	v_lshlrev_b32_e32 v14, v14, v16
	v_cmp_ne_u32_e32 vcc, v14, v12
	v_cndmask_b32_e64 v12, 0, 1, vcc
	v_add_u32_e32 v14, 0xfffffc10, v13
	v_or_b32_e32 v12, v16, v12
	v_lshl_or_b32 v13, v14, 12, v10
	v_cmp_gt_i32_e32 vcc, 1, v14
	v_cndmask_b32_e32 v12, v13, v12, vcc
	v_and_b32_e32 v13, 7, v12
	v_cmp_lt_i32_e32 vcc, 5, v13
	v_cmp_eq_u32_e64 s[2:3], 3, v13
	v_lshrrev_b32_e32 v12, 2, v12
	s_or_b64 vcc, s[2:3], vcc
	v_addc_co_u32_e32 v12, vcc, 0, v12, vcc
	v_cmp_gt_i32_e32 vcc, 31, v14
	v_lshrrev_b32_e32 v17, 16, v11
	v_cndmask_b32_e32 v16, v2, v12, vcc
	v_mul_f16_sdwa v12, v72, v17 dst_sel:DWORD dst_unused:UNUSED_PAD src0_sel:WORD_1 src1_sel:DWORD
	v_fma_f16 v12, v72, v11, v12
	v_cvt_f32_f16_e32 v12, v12
	v_cmp_ne_u32_e32 vcc, 0, v10
	v_cndmask_b32_e64 v10, 0, 1, vcc
	v_lshl_or_b32 v10, v10, 9, v2
	v_cvt_f64_f32_e32 v[12:13], v12
	v_cmp_eq_u32_e32 vcc, s11, v14
	v_cndmask_b32_e32 v10, v16, v10, vcc
	v_lshrrev_b32_e32 v14, 16, v15
	v_mul_f64 v[12:13], v[12:13], s[12:13]
	v_and_or_b32 v10, v14, s14, v10
	v_and_b32_e32 v6, 0xffff, v6
	v_add_co_u32_e32 v8, vcc, s4, v8
	v_lshl_or_b32 v6, v10, 16, v6
	v_addc_co_u32_e32 v9, vcc, v9, v5, vcc
	global_store_dword v[8:9], v6, off
	v_and_or_b32 v6, v13, s15, v12
	v_cmp_ne_u32_e32 vcc, 0, v6
	v_cndmask_b32_e64 v6, 0, 1, vcc
	v_lshrrev_b32_e32 v10, 8, v13
	v_bfe_u32 v12, v13, 20, 11
	v_and_or_b32 v6, v10, s10, v6
	v_sub_u32_e32 v14, 0x3f1, v12
	v_or_b32_e32 v10, 0x1000, v6
	v_med3_i32 v14, v14, 0, 13
	v_lshrrev_b32_e32 v15, v14, v10
	v_lshlrev_b32_e32 v14, v14, v15
	v_mul_f16_sdwa v11, v72, v11 dst_sel:DWORD dst_unused:UNUSED_PAD src0_sel:WORD_1 src1_sel:DWORD
	v_cmp_ne_u32_e32 vcc, v14, v10
	v_fma_f16 v11, v72, v17, -v11
	v_cndmask_b32_e64 v10, 0, 1, vcc
	v_add_u32_e32 v12, 0xfffffc10, v12
	v_cvt_f32_f16_e32 v11, v11
	v_or_b32_e32 v10, v15, v10
	v_lshl_or_b32 v14, v12, 12, v6
	v_cmp_gt_i32_e32 vcc, 1, v12
	v_cndmask_b32_e32 v10, v14, v10, vcc
	v_and_b32_e32 v14, 7, v10
	v_cmp_lt_i32_e32 vcc, 5, v14
	v_cmp_eq_u32_e64 s[2:3], 3, v14
	v_lshrrev_b32_e32 v14, 2, v10
	v_cvt_f64_f32_e32 v[10:11], v11
	s_or_b64 vcc, s[2:3], vcc
	v_addc_co_u32_e32 v14, vcc, 0, v14, vcc
	v_mul_f64 v[10:11], v[10:11], s[12:13]
	v_cmp_gt_i32_e32 vcc, 31, v12
	v_cndmask_b32_e32 v14, v2, v14, vcc
	v_cmp_ne_u32_e32 vcc, 0, v6
	v_cndmask_b32_e64 v6, 0, 1, vcc
	v_lshl_or_b32 v6, v6, 9, v2
	v_cmp_eq_u32_e32 vcc, s11, v12
	v_cndmask_b32_e32 v6, v14, v6, vcc
	v_and_or_b32 v10, v11, s15, v10
	v_lshrrev_b32_e32 v12, 16, v13
	v_cmp_ne_u32_e32 vcc, 0, v10
	v_and_or_b32 v6, v12, s14, v6
	v_cndmask_b32_e64 v10, 0, 1, vcc
	v_lshrrev_b32_e32 v12, 8, v11
	v_bfe_u32 v13, v11, 20, 11
	v_and_or_b32 v10, v12, s10, v10
	v_sub_u32_e32 v14, 0x3f1, v13
	v_or_b32_e32 v12, 0x1000, v10
	v_med3_i32 v14, v14, 0, 13
	v_lshrrev_b32_e32 v15, v14, v12
	v_lshlrev_b32_e32 v14, v14, v15
	v_cmp_ne_u32_e32 vcc, v14, v12
	v_cndmask_b32_e64 v12, 0, 1, vcc
	v_add_u32_e32 v14, 0xfffffc10, v13
	v_or_b32_e32 v12, v15, v12
	v_lshl_or_b32 v13, v14, 12, v10
	v_cmp_gt_i32_e32 vcc, 1, v14
	v_cndmask_b32_e32 v12, v13, v12, vcc
	v_and_b32_e32 v13, 7, v12
	v_cmp_lt_i32_e32 vcc, 5, v13
	v_cmp_eq_u32_e64 s[2:3], 3, v13
	v_lshrrev_b32_e32 v12, 2, v12
	s_or_b64 vcc, s[2:3], vcc
	v_addc_co_u32_e32 v12, vcc, 0, v12, vcc
	v_cmp_gt_i32_e32 vcc, 31, v14
	v_lshrrev_b32_e32 v16, 16, v7
	v_cndmask_b32_e32 v15, v2, v12, vcc
	v_mul_f16_sdwa v12, v71, v16 dst_sel:DWORD dst_unused:UNUSED_PAD src0_sel:WORD_1 src1_sel:DWORD
	v_fma_f16 v12, v71, v7, v12
	v_cvt_f32_f16_e32 v12, v12
	v_cmp_ne_u32_e32 vcc, 0, v10
	v_cndmask_b32_e64 v10, 0, 1, vcc
	v_lshl_or_b32 v10, v10, 9, v2
	v_cvt_f64_f32_e32 v[12:13], v12
	v_cmp_eq_u32_e32 vcc, s11, v14
	v_cndmask_b32_e32 v10, v15, v10, vcc
	v_lshrrev_b32_e32 v11, 16, v11
	v_and_or_b32 v14, v11, s14, v10
	v_mul_f64 v[10:11], v[12:13], s[12:13]
	v_and_b32_e32 v6, 0xffff, v6
	v_add_co_u32_e32 v8, vcc, s6, v8
	v_lshl_or_b32 v6, v14, 16, v6
	v_addc_co_u32_e32 v9, vcc, v9, v1, vcc
	global_store_dword v[8:9], v6, off
	v_and_or_b32 v6, v11, s15, v10
	v_cmp_ne_u32_e32 vcc, 0, v6
	v_cndmask_b32_e64 v6, 0, 1, vcc
	v_lshrrev_b32_e32 v10, 8, v11
	v_bfe_u32 v12, v11, 20, 11
	v_and_or_b32 v10, v10, s10, v6
	v_sub_u32_e32 v13, 0x3f1, v12
	v_or_b32_e32 v6, 0x1000, v10
	v_med3_i32 v13, v13, 0, 13
	v_lshrrev_b32_e32 v14, v13, v6
	v_lshlrev_b32_e32 v13, v13, v14
	v_mul_f16_sdwa v7, v71, v7 dst_sel:DWORD dst_unused:UNUSED_PAD src0_sel:WORD_1 src1_sel:DWORD
	v_cmp_ne_u32_e32 vcc, v13, v6
	v_fma_f16 v7, v71, v16, -v7
	v_cndmask_b32_e64 v6, 0, 1, vcc
	v_add_u32_e32 v12, 0xfffffc10, v12
	v_cvt_f32_f16_e32 v7, v7
	v_or_b32_e32 v6, v14, v6
	v_lshl_or_b32 v13, v12, 12, v10
	v_cmp_gt_i32_e32 vcc, 1, v12
	v_cndmask_b32_e32 v6, v13, v6, vcc
	v_and_b32_e32 v13, 7, v6
	v_cmp_lt_i32_e32 vcc, 5, v13
	v_cmp_eq_u32_e64 s[2:3], 3, v13
	v_lshrrev_b32_e32 v13, 2, v6
	v_cvt_f64_f32_e32 v[6:7], v7
	s_or_b64 vcc, s[2:3], vcc
	v_addc_co_u32_e32 v13, vcc, 0, v13, vcc
	v_mul_f64 v[6:7], v[6:7], s[12:13]
	v_cmp_gt_i32_e32 vcc, 31, v12
	v_cndmask_b32_e32 v13, v2, v13, vcc
	v_cmp_ne_u32_e32 vcc, 0, v10
	v_cndmask_b32_e64 v10, 0, 1, vcc
	v_lshl_or_b32 v10, v10, 9, v2
	v_cmp_eq_u32_e32 vcc, s11, v12
	v_cndmask_b32_e32 v10, v13, v10, vcc
	v_and_or_b32 v6, v7, s15, v6
	v_lshrrev_b32_e32 v11, 16, v11
	v_cmp_ne_u32_e32 vcc, 0, v6
	v_and_or_b32 v14, v11, s14, v10
	v_cndmask_b32_e64 v6, 0, 1, vcc
	v_lshrrev_b32_e32 v10, 8, v7
	v_bfe_u32 v11, v7, 20, 11
	v_and_or_b32 v6, v10, s10, v6
	v_sub_u32_e32 v12, 0x3f1, v11
	v_or_b32_e32 v10, 0x1000, v6
	v_med3_i32 v12, v12, 0, 13
	v_lshrrev_b32_e32 v13, v12, v10
	v_lshlrev_b32_e32 v12, v12, v13
	v_cmp_ne_u32_e32 vcc, v12, v10
	v_cndmask_b32_e64 v10, 0, 1, vcc
	v_add_u32_e32 v15, 0xfffffc10, v11
	v_or_b32_e32 v10, v13, v10
	v_lshl_or_b32 v11, v15, 12, v6
	v_cmp_gt_i32_e32 vcc, 1, v15
	v_cndmask_b32_e32 v10, v11, v10, vcc
	v_and_b32_e32 v11, 7, v10
	v_lshrrev_b32_e32 v12, 2, v10
	v_add_u32_e32 v10, 0xa00, v63
	v_cmp_lt_i32_e32 vcc, 5, v11
	v_cmp_eq_u32_e64 s[2:3], 3, v11
	ds_read2_b32 v[10:11], v10 offset0:74 offset1:142
	s_or_b64 vcc, s[2:3], vcc
	v_addc_co_u32_e32 v12, vcc, 0, v12, vcc
	v_cmp_gt_i32_e32 vcc, 31, v15
	s_waitcnt lgkmcnt(0)
	v_lshrrev_b32_e32 v17, 16, v10
	v_cndmask_b32_e32 v16, v2, v12, vcc
	v_mul_f16_sdwa v12, v70, v17 dst_sel:DWORD dst_unused:UNUSED_PAD src0_sel:WORD_1 src1_sel:DWORD
	v_fma_f16 v12, v70, v10, v12
	v_cvt_f32_f16_e32 v12, v12
	v_cmp_ne_u32_e32 vcc, 0, v6
	v_cndmask_b32_e64 v6, 0, 1, vcc
	v_lshl_or_b32 v6, v6, 9, v2
	v_cvt_f64_f32_e32 v[12:13], v12
	v_cmp_eq_u32_e32 vcc, s11, v15
	v_cndmask_b32_e32 v6, v16, v6, vcc
	v_lshrrev_b32_e32 v7, 16, v7
	v_and_or_b32 v15, v7, s14, v6
	v_mul_f64 v[6:7], v[12:13], s[12:13]
	v_add_co_u32_e32 v8, vcc, s4, v8
	v_and_b32_e32 v12, 0xffff, v14
	v_addc_co_u32_e32 v9, vcc, v9, v5, vcc
	v_lshl_or_b32 v12, v15, 16, v12
	global_store_dword v[8:9], v12, off
	v_and_or_b32 v6, v7, s15, v6
	v_cmp_ne_u32_e32 vcc, 0, v6
	v_cndmask_b32_e64 v6, 0, 1, vcc
	v_lshrrev_b32_e32 v12, 8, v7
	v_bfe_u32 v13, v7, 20, 11
	v_and_or_b32 v6, v12, s10, v6
	v_sub_u32_e32 v14, 0x3f1, v13
	v_or_b32_e32 v12, 0x1000, v6
	v_med3_i32 v14, v14, 0, 13
	v_lshrrev_b32_e32 v15, v14, v12
	v_lshlrev_b32_e32 v14, v14, v15
	v_mul_f16_sdwa v10, v70, v10 dst_sel:DWORD dst_unused:UNUSED_PAD src0_sel:WORD_1 src1_sel:DWORD
	v_cmp_ne_u32_e32 vcc, v14, v12
	v_fma_f16 v10, v70, v17, -v10
	v_cndmask_b32_e64 v12, 0, 1, vcc
	v_add_u32_e32 v14, 0xfffffc10, v13
	v_cvt_f32_f16_e32 v10, v10
	v_or_b32_e32 v12, v15, v12
	v_lshl_or_b32 v13, v14, 12, v6
	v_cmp_gt_i32_e32 vcc, 1, v14
	v_cndmask_b32_e32 v12, v13, v12, vcc
	v_and_b32_e32 v13, 7, v12
	v_cmp_lt_i32_e32 vcc, 5, v13
	v_cmp_eq_u32_e64 s[2:3], 3, v13
	v_lshrrev_b32_e32 v15, 2, v12
	v_cvt_f64_f32_e32 v[12:13], v10
	s_or_b64 vcc, s[2:3], vcc
	v_addc_co_u32_e32 v10, vcc, 0, v15, vcc
	v_mul_f64 v[12:13], v[12:13], s[12:13]
	v_cmp_gt_i32_e32 vcc, 31, v14
	v_cndmask_b32_e32 v10, v2, v10, vcc
	v_cmp_ne_u32_e32 vcc, 0, v6
	v_cndmask_b32_e64 v6, 0, 1, vcc
	v_lshl_or_b32 v6, v6, 9, v2
	v_cmp_eq_u32_e32 vcc, s11, v14
	v_cndmask_b32_e32 v6, v10, v6, vcc
	v_lshrrev_b32_e32 v7, 16, v7
	v_and_or_b32 v10, v7, s14, v6
	v_and_or_b32 v6, v13, s15, v12
	v_cmp_ne_u32_e32 vcc, 0, v6
	v_cndmask_b32_e64 v6, 0, 1, vcc
	v_lshrrev_b32_e32 v7, 8, v13
	v_and_or_b32 v12, v7, s10, v6
	v_bfe_u32 v7, v13, 20, 11
	v_sub_u32_e32 v14, 0x3f1, v7
	v_or_b32_e32 v6, 0x1000, v12
	v_med3_i32 v14, v14, 0, 13
	v_lshrrev_b32_e32 v15, v14, v6
	v_lshlrev_b32_e32 v14, v14, v15
	v_cmp_ne_u32_e32 vcc, v14, v6
	v_cndmask_b32_e64 v6, 0, 1, vcc
	v_add_u32_e32 v16, 0xfffffc10, v7
	v_or_b32_e32 v6, v15, v6
	v_lshl_or_b32 v7, v16, 12, v12
	v_cmp_gt_i32_e32 vcc, 1, v16
	v_cndmask_b32_e32 v6, v7, v6, vcc
	v_and_b32_e32 v7, 7, v6
	v_cmp_lt_i32_e32 vcc, 5, v7
	v_cmp_eq_u32_e64 s[2:3], 3, v7
	v_lshrrev_b32_e32 v14, 2, v6
	ds_read2_b32 v[6:7], v4 offset0:16 offset1:84
	s_or_b64 vcc, s[2:3], vcc
	v_addc_co_u32_e32 v4, vcc, 0, v14, vcc
	v_cmp_gt_i32_e32 vcc, 31, v16
	s_waitcnt lgkmcnt(0)
	v_lshrrev_b32_e32 v17, 16, v6
	v_mul_f16_sdwa v14, v69, v17 dst_sel:DWORD dst_unused:UNUSED_PAD src0_sel:WORD_1 src1_sel:DWORD
	v_fma_f16 v14, v69, v6, v14
	v_cvt_f32_f16_e32 v14, v14
	v_cndmask_b32_e32 v4, v2, v4, vcc
	v_cmp_ne_u32_e32 vcc, 0, v12
	v_cndmask_b32_e64 v12, 0, 1, vcc
	v_cvt_f64_f32_e32 v[14:15], v14
	v_lshl_or_b32 v12, v12, 9, v2
	v_cmp_eq_u32_e32 vcc, s11, v16
	v_cndmask_b32_e32 v4, v4, v12, vcc
	v_lshrrev_b32_e32 v12, 16, v13
	v_and_or_b32 v4, v12, s14, v4
	v_mul_f64 v[12:13], v[14:15], s[12:13]
	v_and_b32_e32 v10, 0xffff, v10
	v_add_co_u32_e32 v8, vcc, s6, v8
	v_lshl_or_b32 v4, v4, 16, v10
	v_addc_co_u32_e32 v9, vcc, v9, v1, vcc
	global_store_dword v[8:9], v4, off
	v_and_or_b32 v4, v13, s15, v12
	v_cmp_ne_u32_e32 vcc, 0, v4
	v_cndmask_b32_e64 v4, 0, 1, vcc
	v_lshrrev_b32_e32 v10, 8, v13
	v_bfe_u32 v12, v13, 20, 11
	v_and_or_b32 v4, v10, s10, v4
	v_sub_u32_e32 v14, 0x3f1, v12
	v_or_b32_e32 v10, 0x1000, v4
	v_med3_i32 v14, v14, 0, 13
	v_lshrrev_b32_e32 v15, v14, v10
	v_lshlrev_b32_e32 v14, v14, v15
	v_mul_f16_sdwa v6, v69, v6 dst_sel:DWORD dst_unused:UNUSED_PAD src0_sel:WORD_1 src1_sel:DWORD
	v_cmp_ne_u32_e32 vcc, v14, v10
	v_fma_f16 v6, v69, v17, -v6
	v_cndmask_b32_e64 v10, 0, 1, vcc
	v_add_u32_e32 v12, 0xfffffc10, v12
	v_cvt_f32_f16_e32 v6, v6
	v_or_b32_e32 v10, v15, v10
	v_lshl_or_b32 v14, v12, 12, v4
	v_cmp_gt_i32_e32 vcc, 1, v12
	v_cndmask_b32_e32 v10, v14, v10, vcc
	v_and_b32_e32 v14, 7, v10
	v_cmp_lt_i32_e32 vcc, 5, v14
	v_cmp_eq_u32_e64 s[2:3], 3, v14
	v_cvt_f64_f32_e32 v[14:15], v6
	v_lshrrev_b32_e32 v10, 2, v10
	s_or_b64 vcc, s[2:3], vcc
	v_addc_co_u32_e32 v6, vcc, 0, v10, vcc
	v_mul_f64 v[14:15], v[14:15], s[12:13]
	v_cmp_gt_i32_e32 vcc, 31, v12
	v_cndmask_b32_e32 v6, v2, v6, vcc
	v_cmp_ne_u32_e32 vcc, 0, v4
	v_cndmask_b32_e64 v4, 0, 1, vcc
	v_lshl_or_b32 v4, v4, 9, v2
	v_cmp_eq_u32_e32 vcc, s11, v12
	v_cndmask_b32_e32 v4, v6, v4, vcc
	v_lshrrev_b32_e32 v6, 16, v13
	v_and_or_b32 v4, v6, s14, v4
	v_and_or_b32 v6, v15, s15, v14
	v_cmp_ne_u32_e32 vcc, 0, v6
	v_cndmask_b32_e64 v6, 0, 1, vcc
	v_lshrrev_b32_e32 v10, 8, v15
	v_bfe_u32 v12, v15, 20, 11
	v_and_or_b32 v6, v10, s10, v6
	v_sub_u32_e32 v13, 0x3f1, v12
	v_or_b32_e32 v10, 0x1000, v6
	v_med3_i32 v13, v13, 0, 13
	v_lshrrev_b32_e32 v14, v13, v10
	v_lshlrev_b32_e32 v13, v13, v14
	v_cmp_ne_u32_e32 vcc, v13, v10
	v_cndmask_b32_e64 v10, 0, 1, vcc
	v_or_b32_e32 v10, v14, v10
	v_add_u32_e32 v14, 0xfffffc10, v12
	v_lshl_or_b32 v12, v14, 12, v6
	v_cmp_gt_i32_e32 vcc, 1, v14
	v_cndmask_b32_e32 v10, v12, v10, vcc
	v_and_b32_e32 v12, 7, v10
	v_lshrrev_b32_e32 v16, 16, v11
	v_cmp_lt_i32_e32 vcc, 5, v12
	v_cmp_eq_u32_e64 s[2:3], 3, v12
	v_mul_f16_sdwa v12, v68, v16 dst_sel:DWORD dst_unused:UNUSED_PAD src0_sel:WORD_1 src1_sel:DWORD
	v_fma_f16 v12, v68, v11, v12
	v_cvt_f32_f16_e32 v12, v12
	v_lshrrev_b32_e32 v10, 2, v10
	s_or_b64 vcc, s[2:3], vcc
	v_addc_co_u32_e32 v10, vcc, 0, v10, vcc
	v_cvt_f64_f32_e32 v[12:13], v12
	v_cmp_gt_i32_e32 vcc, 31, v14
	v_cndmask_b32_e32 v10, v2, v10, vcc
	v_cmp_ne_u32_e32 vcc, 0, v6
	v_mul_f64 v[12:13], v[12:13], s[12:13]
	v_cndmask_b32_e64 v6, 0, 1, vcc
	v_lshl_or_b32 v6, v6, 9, v2
	v_cmp_eq_u32_e32 vcc, s11, v14
	v_cndmask_b32_e32 v6, v10, v6, vcc
	v_lshrrev_b32_e32 v10, 16, v15
	v_and_or_b32 v6, v10, s14, v6
	v_and_b32_e32 v4, 0xffff, v4
	v_add_co_u32_e32 v8, vcc, s4, v8
	v_lshl_or_b32 v4, v6, 16, v4
	v_addc_co_u32_e32 v9, vcc, v9, v5, vcc
	global_store_dword v[8:9], v4, off
	v_and_or_b32 v4, v13, s15, v12
	v_cmp_ne_u32_e32 vcc, 0, v4
	v_cndmask_b32_e64 v4, 0, 1, vcc
	v_lshrrev_b32_e32 v6, 8, v13
	v_bfe_u32 v10, v13, 20, 11
	v_and_or_b32 v4, v6, s10, v4
	v_sub_u32_e32 v12, 0x3f1, v10
	v_or_b32_e32 v6, 0x1000, v4
	v_med3_i32 v12, v12, 0, 13
	v_lshrrev_b32_e32 v14, v12, v6
	v_lshlrev_b32_e32 v12, v12, v14
	v_mul_f16_sdwa v11, v68, v11 dst_sel:DWORD dst_unused:UNUSED_PAD src0_sel:WORD_1 src1_sel:DWORD
	v_cmp_ne_u32_e32 vcc, v12, v6
	v_fma_f16 v11, v68, v16, -v11
	v_cndmask_b32_e64 v6, 0, 1, vcc
	v_add_u32_e32 v12, 0xfffffc10, v10
	v_cvt_f32_f16_e32 v11, v11
	v_or_b32_e32 v6, v14, v6
	v_lshl_or_b32 v10, v12, 12, v4
	v_cmp_gt_i32_e32 vcc, 1, v12
	v_cndmask_b32_e32 v6, v10, v6, vcc
	v_and_b32_e32 v10, 7, v6
	v_cmp_lt_i32_e32 vcc, 5, v10
	v_cmp_eq_u32_e64 s[2:3], 3, v10
	v_cvt_f64_f32_e32 v[10:11], v11
	v_lshrrev_b32_e32 v6, 2, v6
	s_or_b64 vcc, s[2:3], vcc
	v_addc_co_u32_e32 v6, vcc, 0, v6, vcc
	v_mul_f64 v[10:11], v[10:11], s[12:13]
	v_cmp_gt_i32_e32 vcc, 31, v12
	v_cndmask_b32_e32 v6, v2, v6, vcc
	v_cmp_ne_u32_e32 vcc, 0, v4
	v_cndmask_b32_e64 v4, 0, 1, vcc
	v_lshl_or_b32 v4, v4, 9, v2
	v_cmp_eq_u32_e32 vcc, s11, v12
	v_cndmask_b32_e32 v4, v6, v4, vcc
	v_lshrrev_b32_e32 v6, 16, v13
	v_and_or_b32 v4, v6, s14, v4
	v_and_or_b32 v6, v11, s15, v10
	v_cmp_ne_u32_e32 vcc, 0, v6
	v_cndmask_b32_e64 v6, 0, 1, vcc
	v_lshrrev_b32_e32 v10, 8, v11
	v_bfe_u32 v12, v11, 20, 11
	v_and_or_b32 v6, v10, s10, v6
	v_sub_u32_e32 v13, 0x3f1, v12
	v_or_b32_e32 v10, 0x1000, v6
	v_med3_i32 v13, v13, 0, 13
	v_lshrrev_b32_e32 v14, v13, v10
	v_lshlrev_b32_e32 v13, v13, v14
	v_cmp_ne_u32_e32 vcc, v13, v10
	v_cndmask_b32_e64 v10, 0, 1, vcc
	v_or_b32_e32 v10, v14, v10
	v_add_u32_e32 v14, 0xfffffc10, v12
	v_lshl_or_b32 v12, v14, 12, v6
	v_cmp_gt_i32_e32 vcc, 1, v14
	v_cndmask_b32_e32 v10, v12, v10, vcc
	v_and_b32_e32 v12, 7, v10
	v_lshrrev_b32_e32 v15, 16, v7
	v_cmp_lt_i32_e32 vcc, 5, v12
	v_cmp_eq_u32_e64 s[2:3], 3, v12
	v_mul_f16_sdwa v12, v67, v15 dst_sel:DWORD dst_unused:UNUSED_PAD src0_sel:WORD_1 src1_sel:DWORD
	v_fma_f16 v12, v67, v7, v12
	v_cvt_f32_f16_e32 v12, v12
	v_lshrrev_b32_e32 v10, 2, v10
	s_or_b64 vcc, s[2:3], vcc
	v_addc_co_u32_e32 v10, vcc, 0, v10, vcc
	v_cmp_gt_i32_e32 vcc, 31, v14
	v_cndmask_b32_e32 v10, v2, v10, vcc
	v_cmp_ne_u32_e32 vcc, 0, v6
	v_cvt_f64_f32_e32 v[12:13], v12
	v_cndmask_b32_e64 v6, 0, 1, vcc
	v_lshl_or_b32 v6, v6, 9, v2
	v_cmp_eq_u32_e32 vcc, s11, v14
	v_cndmask_b32_e32 v6, v10, v6, vcc
	v_lshrrev_b32_e32 v10, 16, v11
	v_and_or_b32 v6, v10, s14, v6
	v_mul_f64 v[10:11], v[12:13], s[12:13]
	v_and_b32_e32 v4, 0xffff, v4
	v_add_co_u32_e32 v8, vcc, s6, v8
	v_lshl_or_b32 v4, v6, 16, v4
	v_addc_co_u32_e32 v9, vcc, v9, v1, vcc
	global_store_dword v[8:9], v4, off
	v_and_or_b32 v4, v11, s15, v10
	v_cmp_ne_u32_e32 vcc, 0, v4
	v_cndmask_b32_e64 v4, 0, 1, vcc
	v_lshrrev_b32_e32 v6, 8, v11
	v_bfe_u32 v10, v11, 20, 11
	v_and_or_b32 v4, v6, s10, v4
	v_sub_u32_e32 v12, 0x3f1, v10
	v_or_b32_e32 v6, 0x1000, v4
	v_med3_i32 v12, v12, 0, 13
	v_lshrrev_b32_e32 v13, v12, v6
	v_lshlrev_b32_e32 v12, v12, v13
	v_mul_f16_sdwa v7, v67, v7 dst_sel:DWORD dst_unused:UNUSED_PAD src0_sel:WORD_1 src1_sel:DWORD
	v_cmp_ne_u32_e32 vcc, v12, v6
	v_fma_f16 v7, v67, v15, -v7
	v_cndmask_b32_e64 v6, 0, 1, vcc
	v_add_u32_e32 v10, 0xfffffc10, v10
	v_cvt_f32_f16_e32 v7, v7
	v_or_b32_e32 v6, v13, v6
	v_lshl_or_b32 v12, v10, 12, v4
	v_cmp_gt_i32_e32 vcc, 1, v10
	v_cndmask_b32_e32 v6, v12, v6, vcc
	v_and_b32_e32 v12, 7, v6
	v_cmp_lt_i32_e32 vcc, 5, v12
	v_cmp_eq_u32_e64 s[2:3], 3, v12
	v_lshrrev_b32_e32 v12, 2, v6
	v_cvt_f64_f32_e32 v[6:7], v7
	s_or_b64 vcc, s[2:3], vcc
	v_addc_co_u32_e32 v12, vcc, 0, v12, vcc
	v_mul_f64 v[6:7], v[6:7], s[12:13]
	v_cmp_gt_i32_e32 vcc, 31, v10
	v_cndmask_b32_e32 v12, v2, v12, vcc
	v_cmp_ne_u32_e32 vcc, 0, v4
	v_cndmask_b32_e64 v4, 0, 1, vcc
	v_lshl_or_b32 v4, v4, 9, v2
	v_cmp_eq_u32_e32 vcc, s11, v10
	v_cndmask_b32_e32 v4, v12, v4, vcc
	v_lshrrev_b32_e32 v10, 16, v11
	v_and_or_b32 v12, v10, s14, v4
	v_and_or_b32 v4, v7, s15, v6
	v_cmp_ne_u32_e32 vcc, 0, v4
	v_cndmask_b32_e64 v4, 0, 1, vcc
	v_lshrrev_b32_e32 v6, 8, v7
	v_bfe_u32 v10, v7, 20, 11
	v_and_or_b32 v6, v6, s10, v4
	v_sub_u32_e32 v11, 0x3f1, v10
	v_or_b32_e32 v4, 0x1000, v6
	v_med3_i32 v11, v11, 0, 13
	v_lshrrev_b32_e32 v13, v11, v4
	v_lshlrev_b32_e32 v11, v11, v13
	v_cmp_ne_u32_e32 vcc, v11, v4
	v_cndmask_b32_e64 v4, 0, 1, vcc
	v_or_b32_e32 v4, v13, v4
	v_add_u32_e32 v13, 0xfffffc10, v10
	v_lshl_or_b32 v10, v13, 12, v6
	v_cmp_gt_i32_e32 vcc, 1, v13
	v_cndmask_b32_e32 v4, v10, v4, vcc
	v_and_b32_e32 v10, 7, v4
	v_cmp_lt_i32_e32 vcc, 5, v10
	v_cmp_eq_u32_e64 s[2:3], 3, v10
	v_lshrrev_b32_e32 v10, 2, v4
	ds_read2_b32 v[3:4], v3 offset0:82 offset1:150
	s_or_b64 vcc, s[2:3], vcc
	v_addc_co_u32_e32 v10, vcc, 0, v10, vcc
	v_cmp_gt_i32_e32 vcc, 31, v13
	s_waitcnt lgkmcnt(0)
	v_lshrrev_b32_e32 v15, 16, v3
	v_cndmask_b32_e32 v14, v2, v10, vcc
	v_mul_f16_sdwa v10, v66, v15 dst_sel:DWORD dst_unused:UNUSED_PAD src0_sel:WORD_1 src1_sel:DWORD
	v_fma_f16 v10, v66, v3, v10
	v_cvt_f32_f16_e32 v10, v10
	v_cmp_ne_u32_e32 vcc, 0, v6
	v_cndmask_b32_e64 v6, 0, 1, vcc
	v_lshl_or_b32 v6, v6, 9, v2
	v_cvt_f64_f32_e32 v[10:11], v10
	v_cmp_eq_u32_e32 vcc, s11, v13
	v_cndmask_b32_e32 v6, v14, v6, vcc
	v_lshrrev_b32_e32 v7, 16, v7
	v_and_or_b32 v13, v7, s14, v6
	v_mul_f64 v[6:7], v[10:11], s[12:13]
	v_add_co_u32_e32 v8, vcc, s4, v8
	v_and_b32_e32 v10, 0xffff, v12
	v_addc_co_u32_e32 v9, vcc, v9, v5, vcc
	v_lshl_or_b32 v10, v13, 16, v10
	global_store_dword v[8:9], v10, off
	v_and_or_b32 v6, v7, s15, v6
	v_cmp_ne_u32_e32 vcc, 0, v6
	v_cndmask_b32_e64 v6, 0, 1, vcc
	v_lshrrev_b32_e32 v10, 8, v7
	v_bfe_u32 v11, v7, 20, 11
	v_and_or_b32 v6, v10, s10, v6
	v_sub_u32_e32 v12, 0x3f1, v11
	v_or_b32_e32 v10, 0x1000, v6
	v_med3_i32 v12, v12, 0, 13
	v_lshrrev_b32_e32 v13, v12, v10
	v_lshlrev_b32_e32 v12, v12, v13
	v_mul_f16_sdwa v3, v66, v3 dst_sel:DWORD dst_unused:UNUSED_PAD src0_sel:WORD_1 src1_sel:DWORD
	v_cmp_ne_u32_e32 vcc, v12, v10
	v_fma_f16 v3, v66, v15, -v3
	v_cndmask_b32_e64 v10, 0, 1, vcc
	v_add_u32_e32 v12, 0xfffffc10, v11
	v_cvt_f32_f16_e32 v3, v3
	v_or_b32_e32 v10, v13, v10
	v_lshl_or_b32 v11, v12, 12, v6
	v_cmp_gt_i32_e32 vcc, 1, v12
	v_cndmask_b32_e32 v10, v11, v10, vcc
	v_and_b32_e32 v11, 7, v10
	v_cmp_lt_i32_e32 vcc, 5, v11
	v_cmp_eq_u32_e64 s[2:3], 3, v11
	v_lshrrev_b32_e32 v13, 2, v10
	v_cvt_f64_f32_e32 v[10:11], v3
	s_or_b64 vcc, s[2:3], vcc
	v_addc_co_u32_e32 v3, vcc, 0, v13, vcc
	v_mul_f64 v[10:11], v[10:11], s[12:13]
	v_cmp_gt_i32_e32 vcc, 31, v12
	v_cndmask_b32_e32 v3, v2, v3, vcc
	v_cmp_ne_u32_e32 vcc, 0, v6
	v_cndmask_b32_e64 v6, 0, 1, vcc
	v_lshl_or_b32 v6, v6, 9, v2
	v_cmp_eq_u32_e32 vcc, s11, v12
	v_cndmask_b32_e32 v3, v3, v6, vcc
	v_lshrrev_b32_e32 v6, 16, v7
	v_and_or_b32 v3, v6, s14, v3
	v_and_or_b32 v6, v11, s15, v10
	v_cmp_ne_u32_e32 vcc, 0, v6
	v_cndmask_b32_e64 v6, 0, 1, vcc
	v_lshrrev_b32_e32 v7, 8, v11
	v_bfe_u32 v10, v11, 20, 11
	v_and_or_b32 v6, v7, s10, v6
	v_sub_u32_e32 v12, 0x3f1, v10
	v_or_b32_e32 v7, 0x1000, v6
	v_med3_i32 v12, v12, 0, 13
	v_lshrrev_b32_e32 v13, v12, v7
	v_lshlrev_b32_e32 v12, v12, v13
	v_cmp_ne_u32_e32 vcc, v12, v7
	v_cndmask_b32_e64 v7, 0, 1, vcc
	v_add_u32_e32 v10, 0xfffffc10, v10
	v_or_b32_e32 v7, v13, v7
	v_lshl_or_b32 v12, v10, 12, v6
	v_cmp_gt_i32_e32 vcc, 1, v10
	v_cndmask_b32_e32 v7, v12, v7, vcc
	v_and_b32_e32 v12, 7, v7
	v_cmp_lt_i32_e32 vcc, 5, v12
	v_cmp_eq_u32_e64 s[2:3], 3, v12
	v_lshrrev_b32_e32 v7, 2, v7
	s_or_b64 vcc, s[2:3], vcc
	v_addc_co_u32_e32 v7, vcc, 0, v7, vcc
	v_cmp_gt_i32_e32 vcc, 31, v10
	v_lshrrev_b32_e32 v13, 16, v0
	v_cndmask_b32_e32 v12, v2, v7, vcc
	v_mul_f16_sdwa v7, v65, v13 dst_sel:DWORD dst_unused:UNUSED_PAD src0_sel:WORD_1 src1_sel:DWORD
	v_fma_f16 v7, v65, v0, v7
	v_cvt_f32_f16_e32 v7, v7
	v_cmp_ne_u32_e32 vcc, 0, v6
	v_cndmask_b32_e64 v6, 0, 1, vcc
	v_lshl_or_b32 v14, v6, 9, v2
	v_cvt_f64_f32_e32 v[6:7], v7
	v_cmp_eq_u32_e32 vcc, s11, v10
	v_cndmask_b32_e32 v10, v12, v14, vcc
	v_lshrrev_b32_e32 v11, 16, v11
	v_mul_f64 v[6:7], v[6:7], s[12:13]
	v_and_or_b32 v10, v11, s14, v10
	v_and_b32_e32 v3, 0xffff, v3
	v_add_co_u32_e32 v8, vcc, s6, v8
	v_lshl_or_b32 v3, v10, 16, v3
	v_addc_co_u32_e32 v9, vcc, v9, v1, vcc
	global_store_dword v[8:9], v3, off
	v_and_or_b32 v3, v7, s15, v6
	v_cmp_ne_u32_e32 vcc, 0, v3
	v_cndmask_b32_e64 v3, 0, 1, vcc
	v_lshrrev_b32_e32 v6, 8, v7
	v_bfe_u32 v10, v7, 20, 11
	v_and_or_b32 v3, v6, s10, v3
	v_sub_u32_e32 v11, 0x3f1, v10
	v_or_b32_e32 v6, 0x1000, v3
	v_med3_i32 v11, v11, 0, 13
	v_lshrrev_b32_e32 v12, v11, v6
	v_lshlrev_b32_e32 v11, v11, v12
	v_cmp_ne_u32_e32 vcc, v11, v6
	v_mul_f16_sdwa v0, v65, v0 dst_sel:DWORD dst_unused:UNUSED_PAD src0_sel:WORD_1 src1_sel:DWORD
	v_cndmask_b32_e64 v6, 0, 1, vcc
	v_fma_f16 v0, v65, v13, -v0
	v_or_b32_e32 v6, v12, v6
	v_add_u32_e32 v12, 0xfffffc10, v10
	v_cvt_f32_f16_e32 v0, v0
	v_lshl_or_b32 v10, v12, 12, v3
	v_cmp_gt_i32_e32 vcc, 1, v12
	v_cndmask_b32_e32 v6, v10, v6, vcc
	v_and_b32_e32 v10, 7, v6
	v_cmp_lt_i32_e32 vcc, 5, v10
	v_cmp_eq_u32_e64 s[2:3], 3, v10
	v_cvt_f64_f32_e32 v[10:11], v0
	v_lshrrev_b32_e32 v6, 2, v6
	s_or_b64 vcc, s[2:3], vcc
	v_addc_co_u32_e32 v0, vcc, 0, v6, vcc
	v_mul_f64 v[10:11], v[10:11], s[12:13]
	v_cmp_gt_i32_e32 vcc, 31, v12
	v_cndmask_b32_e32 v0, v2, v0, vcc
	v_cmp_ne_u32_e32 vcc, 0, v3
	v_cndmask_b32_e64 v3, 0, 1, vcc
	v_lshl_or_b32 v3, v3, 9, v2
	v_cmp_eq_u32_e32 vcc, s11, v12
	v_cndmask_b32_e32 v0, v0, v3, vcc
	v_lshrrev_b32_e32 v3, 16, v7
	v_and_or_b32 v0, v3, s14, v0
	v_and_or_b32 v3, v11, s15, v10
	v_cmp_ne_u32_e32 vcc, 0, v3
	v_cndmask_b32_e64 v3, 0, 1, vcc
	v_lshrrev_b32_e32 v6, 8, v11
	v_bfe_u32 v7, v11, 20, 11
	v_and_or_b32 v3, v6, s10, v3
	v_sub_u32_e32 v10, 0x3f1, v7
	v_or_b32_e32 v6, 0x1000, v3
	v_med3_i32 v10, v10, 0, 13
	v_lshrrev_b32_e32 v12, v10, v6
	v_lshlrev_b32_e32 v10, v10, v12
	v_cmp_ne_u32_e32 vcc, v10, v6
	v_cndmask_b32_e64 v6, 0, 1, vcc
	v_add_u32_e32 v10, 0xfffffc10, v7
	v_or_b32_e32 v6, v12, v6
	v_lshl_or_b32 v7, v10, 12, v3
	v_cmp_gt_i32_e32 vcc, 1, v10
	v_cndmask_b32_e32 v6, v7, v6, vcc
	v_and_b32_e32 v7, 7, v6
	v_cmp_lt_i32_e32 vcc, 5, v7
	v_cmp_eq_u32_e64 s[2:3], 3, v7
	v_lshrrev_b32_e32 v6, 2, v6
	s_or_b64 vcc, s[2:3], vcc
	v_addc_co_u32_e32 v6, vcc, 0, v6, vcc
	v_cmp_gt_i32_e32 vcc, 31, v10
	v_lshrrev_b32_e32 v13, 16, v4
	v_cndmask_b32_e32 v12, v2, v6, vcc
	v_mul_f16_sdwa v6, v193, v13 dst_sel:DWORD dst_unused:UNUSED_PAD src0_sel:WORD_1 src1_sel:DWORD
	v_fma_f16 v6, v193, v4, v6
	v_cvt_f32_f16_e32 v6, v6
	v_cmp_ne_u32_e32 vcc, 0, v3
	v_cndmask_b32_e64 v3, 0, 1, vcc
	v_lshl_or_b32 v3, v3, 9, v2
	v_cvt_f64_f32_e32 v[6:7], v6
	v_cmp_eq_u32_e32 vcc, s11, v10
	v_cndmask_b32_e32 v3, v12, v3, vcc
	v_lshrrev_b32_e32 v10, 16, v11
	v_mul_f64 v[6:7], v[6:7], s[12:13]
	v_and_or_b32 v3, v10, s14, v3
	v_and_b32_e32 v0, 0xffff, v0
	v_add_co_u32_e32 v8, vcc, s4, v8
	v_lshl_or_b32 v0, v3, 16, v0
	v_addc_co_u32_e32 v9, vcc, v9, v5, vcc
	global_store_dword v[8:9], v0, off
	v_and_or_b32 v0, v7, s15, v6
	v_cmp_ne_u32_e32 vcc, 0, v0
	v_cndmask_b32_e64 v0, 0, 1, vcc
	v_lshrrev_b32_e32 v3, 8, v7
	v_bfe_u32 v5, v7, 20, 11
	v_and_or_b32 v0, v3, s10, v0
	v_sub_u32_e32 v6, 0x3f1, v5
	v_or_b32_e32 v3, 0x1000, v0
	v_med3_i32 v6, v6, 0, 13
	v_lshrrev_b32_e32 v10, v6, v3
	v_lshlrev_b32_e32 v6, v6, v10
	v_mul_f16_sdwa v4, v193, v4 dst_sel:DWORD dst_unused:UNUSED_PAD src0_sel:WORD_1 src1_sel:DWORD
	v_cmp_ne_u32_e32 vcc, v6, v3
	v_fma_f16 v4, v193, v13, -v4
	v_cndmask_b32_e64 v3, 0, 1, vcc
	v_add_u32_e32 v5, 0xfffffc10, v5
	v_cvt_f32_f16_e32 v4, v4
	v_or_b32_e32 v3, v10, v3
	v_lshl_or_b32 v6, v5, 12, v0
	v_cmp_gt_i32_e32 vcc, 1, v5
	v_cndmask_b32_e32 v3, v6, v3, vcc
	v_and_b32_e32 v6, 7, v3
	v_cmp_lt_i32_e32 vcc, 5, v6
	v_cmp_eq_u32_e64 s[2:3], 3, v6
	v_lshrrev_b32_e32 v6, 2, v3
	v_cvt_f64_f32_e32 v[3:4], v4
	s_or_b64 vcc, s[2:3], vcc
	v_addc_co_u32_e32 v6, vcc, 0, v6, vcc
	v_mul_f64 v[3:4], v[3:4], s[12:13]
	v_cmp_gt_i32_e32 vcc, 31, v5
	v_cndmask_b32_e32 v6, v2, v6, vcc
	v_cmp_ne_u32_e32 vcc, 0, v0
	v_cndmask_b32_e64 v0, 0, 1, vcc
	v_lshl_or_b32 v0, v0, 9, v2
	v_cmp_eq_u32_e32 vcc, s11, v5
	v_cndmask_b32_e32 v0, v6, v0, vcc
	v_and_or_b32 v3, v4, s15, v3
	v_lshrrev_b32_e32 v5, 16, v7
	v_cmp_ne_u32_e32 vcc, 0, v3
	v_and_or_b32 v0, v5, s14, v0
	v_cndmask_b32_e64 v3, 0, 1, vcc
	v_lshrrev_b32_e32 v5, 8, v4
	v_bfe_u32 v6, v4, 20, 11
	v_and_or_b32 v3, v5, s10, v3
	v_sub_u32_e32 v7, 0x3f1, v6
	v_or_b32_e32 v5, 0x1000, v3
	v_med3_i32 v7, v7, 0, 13
	v_lshrrev_b32_e32 v10, v7, v5
	v_lshlrev_b32_e32 v7, v7, v10
	v_cmp_ne_u32_e32 vcc, v7, v5
	v_cndmask_b32_e64 v5, 0, 1, vcc
	v_add_u32_e32 v6, 0xfffffc10, v6
	v_or_b32_e32 v5, v10, v5
	v_lshl_or_b32 v7, v6, 12, v3
	v_cmp_gt_i32_e32 vcc, 1, v6
	v_cndmask_b32_e32 v5, v7, v5, vcc
	v_and_b32_e32 v7, 7, v5
	v_cmp_lt_i32_e32 vcc, 5, v7
	v_cmp_eq_u32_e64 s[2:3], 3, v7
	v_lshrrev_b32_e32 v5, 2, v5
	s_or_b64 vcc, s[2:3], vcc
	v_addc_co_u32_e32 v5, vcc, 0, v5, vcc
	v_cmp_gt_i32_e32 vcc, 31, v6
	v_cndmask_b32_e32 v5, v2, v5, vcc
	v_cmp_ne_u32_e32 vcc, 0, v3
	v_cndmask_b32_e64 v3, 0, 1, vcc
	v_lshl_or_b32 v3, v3, 9, v2
	v_cmp_eq_u32_e32 vcc, s11, v6
	v_cndmask_b32_e32 v3, v5, v3, vcc
	v_lshrrev_b32_e32 v4, 16, v4
	v_and_or_b32 v3, v4, s14, v3
	v_and_b32_e32 v0, 0xffff, v0
	v_lshl_or_b32 v3, v3, 16, v0
	v_add_co_u32_e32 v0, vcc, s6, v8
	v_addc_co_u32_e32 v1, vcc, v9, v1, vcc
	global_store_dword v[0:1], v3, off
	s_and_b64 exec, exec, s[0:1]
	s_cbranch_execz .LBB0_31
; %bb.30:
	global_load_dword v3, v[183:184], off offset:1904
	ds_read_b32 v4, v63 offset:1904
	ds_read_b32 v7, v63 offset:3944
	v_mov_b32_e32 v8, s5
	v_add_co_u32_e32 v0, vcc, s4, v0
	s_waitcnt lgkmcnt(1)
	v_lshrrev_b32_e32 v5, 16, v4
	v_addc_co_u32_e32 v1, vcc, v1, v8, vcc
	s_waitcnt vmcnt(0)
	v_mul_f16_sdwa v6, v5, v3 dst_sel:DWORD dst_unused:UNUSED_PAD src0_sel:DWORD src1_sel:WORD_1
	v_fma_f16 v6, v4, v3, v6
	v_mul_f16_sdwa v4, v4, v3 dst_sel:DWORD dst_unused:UNUSED_PAD src0_sel:DWORD src1_sel:WORD_1
	v_cvt_f32_f16_e32 v6, v6
	v_fma_f16 v3, v3, v5, -v4
	v_cvt_f32_f16_e32 v5, v3
	v_cvt_f64_f32_e32 v[3:4], v6
	v_cvt_f64_f32_e32 v[5:6], v5
	v_mul_f64 v[3:4], v[3:4], s[12:13]
	v_mul_f64 v[5:6], v[5:6], s[12:13]
	v_and_or_b32 v3, v4, s15, v3
	v_cmp_ne_u32_e32 vcc, 0, v3
	v_and_or_b32 v5, v6, s15, v5
	v_lshrrev_b32_e32 v8, 8, v4
	v_bfe_u32 v9, v4, 20, 11
	v_cndmask_b32_e64 v3, 0, 1, vcc
	v_cmp_ne_u32_e32 vcc, 0, v5
	v_lshrrev_b32_e32 v10, 8, v6
	v_bfe_u32 v11, v6, 20, 11
	v_sub_u32_e32 v12, 0x3f1, v9
	v_cndmask_b32_e64 v5, 0, 1, vcc
	v_and_or_b32 v3, v8, s10, v3
	v_sub_u32_e32 v13, 0x3f1, v11
	v_med3_i32 v8, v12, 0, 13
	v_and_or_b32 v5, v10, s10, v5
	v_or_b32_e32 v12, 0x1000, v3
	v_add_u32_e32 v9, 0xfffffc10, v9
	v_med3_i32 v10, v13, 0, 13
	v_cmp_ne_u32_e32 vcc, 0, v3
	v_or_b32_e32 v14, 0x1000, v5
	v_lshrrev_b32_e32 v16, v8, v12
	v_add_u32_e32 v11, 0xfffffc10, v11
	v_lshl_or_b32 v13, v9, 12, v3
	v_cndmask_b32_e64 v3, 0, 1, vcc
	v_cmp_ne_u32_e32 vcc, 0, v5
	v_lshrrev_b32_e32 v17, v10, v14
	v_lshlrev_b32_e32 v8, v8, v16
	v_lshl_or_b32 v15, v11, 12, v5
	v_cndmask_b32_e64 v5, 0, 1, vcc
	v_lshlrev_b32_e32 v10, v10, v17
	v_cmp_ne_u32_e32 vcc, v8, v12
	v_cndmask_b32_e64 v8, 0, 1, vcc
	v_cmp_ne_u32_e32 vcc, v10, v14
	v_cndmask_b32_e64 v10, 0, 1, vcc
	v_or_b32_e32 v8, v16, v8
	v_cmp_gt_i32_e32 vcc, 1, v9
	v_cndmask_b32_e32 v8, v13, v8, vcc
	v_or_b32_e32 v10, v17, v10
	v_cmp_gt_i32_e32 vcc, 1, v11
	v_and_b32_e32 v12, 7, v8
	v_cndmask_b32_e32 v10, v15, v10, vcc
	v_cmp_lt_i32_e32 vcc, 5, v12
	v_cmp_eq_u32_e64 s[0:1], 3, v12
	v_lshrrev_b32_e32 v8, 2, v8
	v_and_b32_e32 v13, 7, v10
	s_or_b64 vcc, s[0:1], vcc
	v_cmp_lt_i32_e64 s[2:3], 5, v13
	v_cmp_eq_u32_e64 s[4:5], 3, v13
	v_addc_co_u32_e32 v8, vcc, 0, v8, vcc
	v_lshrrev_b32_e32 v10, 2, v10
	s_or_b64 vcc, s[4:5], s[2:3]
	v_addc_co_u32_e32 v10, vcc, 0, v10, vcc
	v_cmp_gt_i32_e32 vcc, 31, v9
	v_cndmask_b32_e32 v8, v2, v8, vcc
	v_cmp_gt_i32_e32 vcc, 31, v11
	v_lshl_or_b32 v3, v3, 9, v2
	v_cndmask_b32_e32 v10, v2, v10, vcc
	v_cmp_eq_u32_e32 vcc, s11, v9
	v_lshrrev_b32_e32 v4, 16, v4
	v_lshl_or_b32 v5, v5, 9, v2
	v_cndmask_b32_e32 v3, v8, v3, vcc
	v_cmp_eq_u32_e32 vcc, s11, v11
	v_lshrrev_b32_e32 v6, 16, v6
	v_cndmask_b32_e32 v5, v10, v5, vcc
	v_and_or_b32 v3, v4, s14, v3
	v_and_or_b32 v4, v6, s14, v5
	v_and_b32_e32 v3, 0xffff, v3
	v_lshl_or_b32 v3, v4, 16, v3
	global_store_dword v[0:1], v3, off
	global_load_dword v3, v[183:184], off offset:3944
	s_waitcnt lgkmcnt(0)
	v_lshrrev_b32_e32 v4, 16, v7
	s_waitcnt vmcnt(0)
	v_mul_f16_sdwa v5, v4, v3 dst_sel:DWORD dst_unused:UNUSED_PAD src0_sel:DWORD src1_sel:WORD_1
	v_fma_f16 v5, v7, v3, v5
	v_mul_f16_sdwa v6, v7, v3 dst_sel:DWORD dst_unused:UNUSED_PAD src0_sel:DWORD src1_sel:WORD_1
	v_cvt_f32_f16_e32 v5, v5
	v_fma_f16 v3, v3, v4, -v6
	v_cvt_f32_f16_e32 v6, v3
	v_mov_b32_e32 v7, s7
	v_cvt_f64_f32_e32 v[3:4], v5
	v_cvt_f64_f32_e32 v[5:6], v6
	v_mul_f64 v[3:4], v[3:4], s[12:13]
	v_mul_f64 v[5:6], v[5:6], s[12:13]
	v_and_or_b32 v3, v4, s15, v3
	v_cmp_ne_u32_e32 vcc, 0, v3
	v_and_or_b32 v5, v6, s15, v5
	v_lshrrev_b32_e32 v8, 8, v4
	v_bfe_u32 v9, v4, 20, 11
	v_cndmask_b32_e64 v3, 0, 1, vcc
	v_cmp_ne_u32_e32 vcc, 0, v5
	v_lshrrev_b32_e32 v10, 8, v6
	v_bfe_u32 v11, v6, 20, 11
	v_sub_u32_e32 v12, 0x3f1, v9
	v_cndmask_b32_e64 v5, 0, 1, vcc
	v_and_or_b32 v3, v8, s10, v3
	v_sub_u32_e32 v13, 0x3f1, v11
	v_med3_i32 v8, v12, 0, 13
	v_and_or_b32 v5, v10, s10, v5
	v_or_b32_e32 v12, 0x1000, v3
	v_add_u32_e32 v9, 0xfffffc10, v9
	v_med3_i32 v10, v13, 0, 13
	v_cmp_ne_u32_e32 vcc, 0, v3
	v_or_b32_e32 v14, 0x1000, v5
	v_lshrrev_b32_e32 v16, v8, v12
	v_add_u32_e32 v11, 0xfffffc10, v11
	v_lshl_or_b32 v13, v9, 12, v3
	v_cndmask_b32_e64 v3, 0, 1, vcc
	v_cmp_ne_u32_e32 vcc, 0, v5
	v_lshrrev_b32_e32 v17, v10, v14
	v_lshlrev_b32_e32 v8, v8, v16
	v_lshl_or_b32 v15, v11, 12, v5
	v_cndmask_b32_e64 v5, 0, 1, vcc
	v_lshlrev_b32_e32 v10, v10, v17
	v_cmp_ne_u32_e32 vcc, v8, v12
	v_cndmask_b32_e64 v8, 0, 1, vcc
	v_cmp_ne_u32_e32 vcc, v10, v14
	v_cndmask_b32_e64 v10, 0, 1, vcc
	v_or_b32_e32 v8, v16, v8
	v_cmp_gt_i32_e32 vcc, 1, v9
	v_cndmask_b32_e32 v8, v13, v8, vcc
	v_or_b32_e32 v10, v17, v10
	v_cmp_gt_i32_e32 vcc, 1, v11
	v_and_b32_e32 v12, 7, v8
	v_cndmask_b32_e32 v10, v15, v10, vcc
	v_cmp_lt_i32_e32 vcc, 5, v12
	v_cmp_eq_u32_e64 s[0:1], 3, v12
	v_lshrrev_b32_e32 v8, 2, v8
	v_and_b32_e32 v13, 7, v10
	s_or_b64 vcc, s[0:1], vcc
	v_cmp_lt_i32_e64 s[2:3], 5, v13
	v_cmp_eq_u32_e64 s[4:5], 3, v13
	v_addc_co_u32_e32 v8, vcc, 0, v8, vcc
	v_lshrrev_b32_e32 v10, 2, v10
	s_or_b64 vcc, s[4:5], s[2:3]
	v_addc_co_u32_e32 v10, vcc, 0, v10, vcc
	v_cmp_gt_i32_e32 vcc, 31, v9
	v_cndmask_b32_e32 v8, v2, v8, vcc
	v_cmp_gt_i32_e32 vcc, 31, v11
	v_lshl_or_b32 v3, v3, 9, v2
	v_lshl_or_b32 v5, v5, 9, v2
	v_cndmask_b32_e32 v2, v2, v10, vcc
	v_cmp_eq_u32_e32 vcc, s11, v9
	v_lshrrev_b32_e32 v4, 16, v4
	v_cndmask_b32_e32 v3, v8, v3, vcc
	v_cmp_eq_u32_e32 vcc, s11, v11
	v_lshrrev_b32_e32 v6, 16, v6
	v_cndmask_b32_e32 v2, v2, v5, vcc
	v_and_or_b32 v3, v4, s14, v3
	v_and_or_b32 v2, v6, s14, v2
	v_and_b32_e32 v3, 0xffff, v3
	v_add_co_u32_e32 v0, vcc, s6, v0
	v_lshl_or_b32 v2, v2, 16, v3
	v_addc_co_u32_e32 v1, vcc, v1, v7, vcc
	global_store_dword v[0:1], v2, off
.LBB0_31:
	s_endpgm
	.section	.rodata,"a",@progbits
	.p2align	6, 0x0
	.amdhsa_kernel bluestein_single_fwd_len1020_dim1_half_op_CI_CI
		.amdhsa_group_segment_fixed_size 12240
		.amdhsa_private_segment_fixed_size 152
		.amdhsa_kernarg_size 104
		.amdhsa_user_sgpr_count 6
		.amdhsa_user_sgpr_private_segment_buffer 1
		.amdhsa_user_sgpr_dispatch_ptr 0
		.amdhsa_user_sgpr_queue_ptr 0
		.amdhsa_user_sgpr_kernarg_segment_ptr 1
		.amdhsa_user_sgpr_dispatch_id 0
		.amdhsa_user_sgpr_flat_scratch_init 0
		.amdhsa_user_sgpr_private_segment_size 0
		.amdhsa_uses_dynamic_stack 0
		.amdhsa_system_sgpr_private_segment_wavefront_offset 1
		.amdhsa_system_sgpr_workgroup_id_x 1
		.amdhsa_system_sgpr_workgroup_id_y 0
		.amdhsa_system_sgpr_workgroup_id_z 0
		.amdhsa_system_sgpr_workgroup_info 0
		.amdhsa_system_vgpr_workitem_id 0
		.amdhsa_next_free_vgpr 256
		.amdhsa_next_free_sgpr 44
		.amdhsa_reserve_vcc 1
		.amdhsa_reserve_flat_scratch 0
		.amdhsa_float_round_mode_32 0
		.amdhsa_float_round_mode_16_64 0
		.amdhsa_float_denorm_mode_32 3
		.amdhsa_float_denorm_mode_16_64 3
		.amdhsa_dx10_clamp 1
		.amdhsa_ieee_mode 1
		.amdhsa_fp16_overflow 0
		.amdhsa_exception_fp_ieee_invalid_op 0
		.amdhsa_exception_fp_denorm_src 0
		.amdhsa_exception_fp_ieee_div_zero 0
		.amdhsa_exception_fp_ieee_overflow 0
		.amdhsa_exception_fp_ieee_underflow 0
		.amdhsa_exception_fp_ieee_inexact 0
		.amdhsa_exception_int_div_zero 0
	.end_amdhsa_kernel
	.text
.Lfunc_end0:
	.size	bluestein_single_fwd_len1020_dim1_half_op_CI_CI, .Lfunc_end0-bluestein_single_fwd_len1020_dim1_half_op_CI_CI
                                        ; -- End function
	.section	.AMDGPU.csdata,"",@progbits
; Kernel info:
; codeLenInByte = 32236
; NumSgprs: 48
; NumVgprs: 256
; ScratchSize: 152
; MemoryBound: 0
; FloatMode: 240
; IeeeMode: 1
; LDSByteSize: 12240 bytes/workgroup (compile time only)
; SGPRBlocks: 5
; VGPRBlocks: 63
; NumSGPRsForWavesPerEU: 48
; NumVGPRsForWavesPerEU: 256
; Occupancy: 1
; WaveLimiterHint : 1
; COMPUTE_PGM_RSRC2:SCRATCH_EN: 1
; COMPUTE_PGM_RSRC2:USER_SGPR: 6
; COMPUTE_PGM_RSRC2:TRAP_HANDLER: 0
; COMPUTE_PGM_RSRC2:TGID_X_EN: 1
; COMPUTE_PGM_RSRC2:TGID_Y_EN: 0
; COMPUTE_PGM_RSRC2:TGID_Z_EN: 0
; COMPUTE_PGM_RSRC2:TIDIG_COMP_CNT: 0
	.type	__hip_cuid_9c533a4caf45ee56,@object ; @__hip_cuid_9c533a4caf45ee56
	.section	.bss,"aw",@nobits
	.globl	__hip_cuid_9c533a4caf45ee56
__hip_cuid_9c533a4caf45ee56:
	.byte	0                               ; 0x0
	.size	__hip_cuid_9c533a4caf45ee56, 1

	.ident	"AMD clang version 19.0.0git (https://github.com/RadeonOpenCompute/llvm-project roc-6.4.0 25133 c7fe45cf4b819c5991fe208aaa96edf142730f1d)"
	.section	".note.GNU-stack","",@progbits
	.addrsig
	.addrsig_sym __hip_cuid_9c533a4caf45ee56
	.amdgpu_metadata
---
amdhsa.kernels:
  - .args:
      - .actual_access:  read_only
        .address_space:  global
        .offset:         0
        .size:           8
        .value_kind:     global_buffer
      - .actual_access:  read_only
        .address_space:  global
        .offset:         8
        .size:           8
        .value_kind:     global_buffer
      - .actual_access:  read_only
        .address_space:  global
        .offset:         16
        .size:           8
        .value_kind:     global_buffer
      - .actual_access:  read_only
        .address_space:  global
        .offset:         24
        .size:           8
        .value_kind:     global_buffer
      - .actual_access:  read_only
        .address_space:  global
        .offset:         32
        .size:           8
        .value_kind:     global_buffer
      - .offset:         40
        .size:           8
        .value_kind:     by_value
      - .address_space:  global
        .offset:         48
        .size:           8
        .value_kind:     global_buffer
      - .address_space:  global
        .offset:         56
        .size:           8
        .value_kind:     global_buffer
      - .address_space:  global
        .offset:         64
        .size:           8
        .value_kind:     global_buffer
      - .address_space:  global
        .offset:         72
        .size:           8
        .value_kind:     global_buffer
      - .offset:         80
        .size:           4
        .value_kind:     by_value
      - .address_space:  global
        .offset:         88
        .size:           8
        .value_kind:     global_buffer
      - .address_space:  global
        .offset:         96
        .size:           8
        .value_kind:     global_buffer
    .group_segment_fixed_size: 12240
    .kernarg_segment_align: 8
    .kernarg_segment_size: 104
    .language:       OpenCL C
    .language_version:
      - 2
      - 0
    .max_flat_workgroup_size: 204
    .name:           bluestein_single_fwd_len1020_dim1_half_op_CI_CI
    .private_segment_fixed_size: 152
    .sgpr_count:     48
    .sgpr_spill_count: 0
    .symbol:         bluestein_single_fwd_len1020_dim1_half_op_CI_CI.kd
    .uniform_work_group_size: 1
    .uses_dynamic_stack: false
    .vgpr_count:     256
    .vgpr_spill_count: 43
    .wavefront_size: 64
amdhsa.target:   amdgcn-amd-amdhsa--gfx906
amdhsa.version:
  - 1
  - 2
...

	.end_amdgpu_metadata
